;; amdgpu-corpus repo=ROCm/rocFFT kind=compiled arch=gfx1201 opt=O3
	.text
	.amdgcn_target "amdgcn-amd-amdhsa--gfx1201"
	.amdhsa_code_object_version 6
	.protected	bluestein_single_back_len119_dim1_sp_op_CI_CI ; -- Begin function bluestein_single_back_len119_dim1_sp_op_CI_CI
	.globl	bluestein_single_back_len119_dim1_sp_op_CI_CI
	.p2align	8
	.type	bluestein_single_back_len119_dim1_sp_op_CI_CI,@function
bluestein_single_back_len119_dim1_sp_op_CI_CI: ; @bluestein_single_back_len119_dim1_sp_op_CI_CI
; %bb.0:
	s_load_b128 s[8:11], s[0:1], 0x28
	v_mul_u32_u24_e32 v1, 0xf10, v0
	s_mov_b32 s2, exec_lo
	s_delay_alu instid0(VALU_DEP_1) | instskip(NEXT) | instid1(VALU_DEP_1)
	v_lshrrev_b32_e32 v1, 16, v1
	v_mad_co_u64_u32 v[52:53], null, ttmp9, 15, v[1:2]
	v_mov_b32_e32 v53, 0
	s_wait_kmcnt 0x0
	s_delay_alu instid0(VALU_DEP_1)
	v_cmpx_gt_u64_e64 s[8:9], v[52:53]
	s_cbranch_execz .LBB0_15
; %bb.1:
	v_mul_hi_u32 v2, 0x88888889, v52
	v_mul_lo_u16 v1, v1, 17
	s_clause 0x1
	s_load_b64 s[8:9], s[0:1], 0x0
	s_load_b64 s[12:13], s[0:1], 0x38
	s_delay_alu instid0(VALU_DEP_1) | instskip(NEXT) | instid1(VALU_DEP_3)
	v_sub_nc_u16 v0, v0, v1
	v_lshrrev_b32_e32 v2, 3, v2
	s_delay_alu instid0(VALU_DEP_2) | instskip(SKIP_1) | instid1(VALU_DEP_3)
	v_and_b32_e32 v64, 0xffff, v0
	v_cmp_gt_u16_e32 vcc_lo, 7, v0
	v_mul_lo_u32 v2, v2, 15
	s_delay_alu instid0(VALU_DEP_3) | instskip(SKIP_2) | instid1(VALU_DEP_4)
	v_lshlrev_b32_e32 v62, 3, v64
	v_or_b32_e32 v63, 56, v64
	v_or_b32_e32 v61, 0x70, v64
	v_sub_nc_u32_e32 v1, v52, v2
	s_delay_alu instid0(VALU_DEP_1) | instskip(NEXT) | instid1(VALU_DEP_1)
	v_mul_u32_u24_e32 v55, 0x77, v1
	v_lshlrev_b32_e32 v65, 3, v55
	s_and_saveexec_b32 s3, vcc_lo
	s_cbranch_execz .LBB0_3
; %bb.2:
	s_load_b64 s[4:5], s[0:1], 0x18
	s_wait_kmcnt 0x0
	s_load_b128 s[4:7], s[4:5], 0x0
	s_clause 0x1
	global_load_b64 v[10:11], v62, s[8:9]
	global_load_b64 v[12:13], v62, s[8:9] offset:448
	s_wait_kmcnt 0x0
	v_mad_co_u64_u32 v[0:1], null, s6, v52, 0
	v_mad_co_u64_u32 v[2:3], null, s4, v64, 0
	;; [unrolled: 1-line block ×3, first 2 shown]
	s_delay_alu instid0(VALU_DEP_2) | instskip(SKIP_1) | instid1(VALU_DEP_1)
	v_mad_co_u64_u32 v[4:5], null, s7, v52, v[1:2]
	s_mul_u64 s[6:7], s[4:5], 56
	v_mad_co_u64_u32 v[5:6], null, s5, v64, v[3:4]
	v_mad_co_u64_u32 v[6:7], null, s4, v63, 0
	v_mov_b32_e32 v1, v4
	s_delay_alu instid0(VALU_DEP_3) | instskip(NEXT) | instid1(VALU_DEP_3)
	v_mov_b32_e32 v3, v5
	v_dual_mov_b32 v5, v9 :: v_dual_mov_b32 v4, v7
	s_delay_alu instid0(VALU_DEP_3) | instskip(NEXT) | instid1(VALU_DEP_3)
	v_lshlrev_b64_e32 v[0:1], 3, v[0:1]
	v_lshlrev_b64_e32 v[2:3], 3, v[2:3]
	s_delay_alu instid0(VALU_DEP_2) | instskip(NEXT) | instid1(VALU_DEP_1)
	v_add_co_u32 v24, s2, s10, v0
	v_add_co_ci_u32_e64 v25, s2, s11, v1, s2
	v_mad_co_u64_u32 v[0:1], null, s5, v63, v[4:5]
	s_delay_alu instid0(VALU_DEP_3) | instskip(SKIP_1) | instid1(VALU_DEP_3)
	v_add_co_u32 v1, s2, v24, v2
	s_wait_alu 0xf1ff
	v_add_co_ci_u32_e64 v2, s2, v25, v3, s2
	v_mad_co_u64_u32 v[3:4], null, s5, v61, v[5:6]
	s_wait_alu 0xfffe
	v_add_co_u32 v4, s2, v1, s6
	s_wait_alu 0xf1ff
	v_add_co_ci_u32_e64 v5, s2, s7, v2, s2
	v_mov_b32_e32 v7, v0
	s_delay_alu instid0(VALU_DEP_3) | instskip(SKIP_1) | instid1(VALU_DEP_3)
	v_add_co_u32 v14, s2, v4, s6
	s_wait_alu 0xf1ff
	v_add_co_ci_u32_e64 v15, s2, s7, v5, s2
	s_delay_alu instid0(VALU_DEP_3) | instskip(NEXT) | instid1(VALU_DEP_3)
	v_lshlrev_b64_e32 v[6:7], 3, v[6:7]
	v_add_co_u32 v16, s2, v14, s6
	s_wait_alu 0xf1ff
	s_delay_alu instid0(VALU_DEP_3) | instskip(SKIP_1) | instid1(VALU_DEP_3)
	v_add_co_ci_u32_e64 v17, s2, s7, v15, s2
	v_mov_b32_e32 v9, v3
	v_add_co_u32 v18, s2, v16, s6
	s_wait_alu 0xf1ff
	s_delay_alu instid0(VALU_DEP_3) | instskip(NEXT) | instid1(VALU_DEP_3)
	v_add_co_ci_u32_e64 v19, s2, s7, v17, s2
	v_lshlrev_b64_e32 v[8:9], 3, v[8:9]
	s_delay_alu instid0(VALU_DEP_3) | instskip(SKIP_1) | instid1(VALU_DEP_3)
	v_add_co_u32 v20, s2, v18, s6
	s_wait_alu 0xf1ff
	v_add_co_ci_u32_e64 v21, s2, s7, v19, s2
	v_add_co_u32 v6, s2, v24, v6
	s_wait_alu 0xf1ff
	v_add_co_ci_u32_e64 v7, s2, v25, v7, s2
	;; [unrolled: 3-line block ×4, first 2 shown]
	global_load_b64 v[0:1], v[1:2], off
	global_load_b64 v[2:3], v62, s[8:9] offset:896
	s_clause 0x2
	global_load_b64 v[6:7], v[6:7], off
	global_load_b64 v[8:9], v[8:9], off
	;; [unrolled: 1-line block ×3, first 2 shown]
	s_clause 0x2
	global_load_b64 v[28:29], v62, s[8:9] offset:56
	global_load_b64 v[30:31], v62, s[8:9] offset:112
	;; [unrolled: 1-line block ×3, first 2 shown]
	global_load_b64 v[14:15], v[14:15], off
	s_clause 0x3
	global_load_b64 v[34:35], v62, s[8:9] offset:224
	global_load_b64 v[36:37], v62, s[8:9] offset:280
	;; [unrolled: 1-line block ×4, first 2 shown]
	s_clause 0x1
	global_load_b64 v[16:17], v[16:17], off
	global_load_b64 v[18:19], v[18:19], off
	v_add_co_u32 v24, s2, v22, s6
	s_wait_alu 0xf1ff
	v_add_co_ci_u32_e64 v25, s2, s7, v23, s2
	s_delay_alu instid0(VALU_DEP_1) | instskip(NEXT) | instid1(VALU_DEP_1)
	v_mad_co_u64_u32 v[26:27], null, 0x70, s4, v[24:25]
	v_add_co_u32 v56, s2, v26, s6
	s_wait_loadcnt 0x9
	s_delay_alu instid0(VALU_DEP_2)
	v_mad_co_u64_u32 v[42:43], null, 0x70, s5, v[27:28]
	s_clause 0x4
	global_load_b64 v[43:44], v62, s[8:9] offset:504
	global_load_b64 v[45:46], v62, s[8:9] offset:560
	;; [unrolled: 1-line block ×5, first 2 shown]
	global_load_b64 v[20:21], v[20:21], off
	global_load_b64 v[22:23], v[22:23], off
	;; [unrolled: 1-line block ×3, first 2 shown]
	v_mul_f32_e32 v78, v1, v11
	v_dual_mul_f32 v60, v0, v11 :: v_dual_mul_f32 v11, v7, v13
	v_mov_b32_e32 v27, v42
	v_mul_f32_e32 v80, v6, v13
	s_delay_alu instid0(VALU_DEP_4)
	v_fmac_f32_e32 v78, v0, v10
	v_mul_f32_e32 v0, v5, v29
	v_mul_f32_e32 v13, v9, v3
	s_wait_alu 0xf1ff
	v_add_co_ci_u32_e64 v57, s2, s7, v27, s2
	v_add_co_u32 v58, s2, v56, s6
	global_load_b64 v[26:27], v[26:27], off
	s_wait_alu 0xf1ff
	v_add_co_ci_u32_e64 v59, s2, s7, v57, s2
	v_add_co_u32 v66, s2, v58, s6
	global_load_b64 v[56:57], v[56:57], off
	;; [unrolled: 4-line block ×5, first 2 shown]
	s_wait_alu 0xf1ff
	v_add_co_ci_u32_e64 v73, s2, s7, v71, s2
	global_load_b64 v[70:71], v[70:71], off
	s_clause 0x1
	global_load_b64 v[74:75], v62, s[8:9] offset:784
	global_load_b64 v[76:77], v62, s[8:9] offset:840
	global_load_b64 v[72:73], v[72:73], off
	v_fma_f32 v79, v1, v10, -v60
	v_mul_f32_e32 v1, v4, v29
	v_dual_fmac_f32 v0, v4, v28 :: v_dual_add_nc_u32 v51, v65, v62
	v_mul_f32_e32 v81, v8, v3
	s_wait_loadcnt 0x17
	v_mul_f32_e32 v3, v15, v31
	v_mul_f32_e32 v4, v14, v31
	v_fmac_f32_e32 v11, v6, v12
	v_fma_f32 v12, v7, v12, -v80
	s_wait_loadcnt 0x12
	v_mul_f32_e32 v6, v16, v33
	v_fmac_f32_e32 v13, v8, v2
	s_wait_loadcnt 0x11
	v_mul_f32_e32 v7, v19, v35
	v_mul_f32_e32 v8, v18, v35
	v_fma_f32 v1, v5, v28, -v1
	v_mul_f32_e32 v5, v17, v33
	v_lshl_add_u32 v42, v64, 3, v65
	v_fmac_f32_e32 v3, v14, v30
	v_fma_f32 v4, v15, v30, -v4
	v_fma_f32 v6, v17, v32, -v6
	v_fmac_f32_e32 v5, v16, v32
	v_fmac_f32_e32 v7, v18, v34
	v_fma_f32 v8, v19, v34, -v8
	ds_store_b64 v42, v[78:79]
	s_wait_loadcnt 0xb
	v_mul_f32_e32 v14, v21, v37
	v_mul_f32_e32 v10, v20, v37
	s_wait_loadcnt 0xa
	v_mul_f32_e32 v16, v23, v39
	s_wait_loadcnt 0x9
	v_dual_mul_f32 v17, v22, v39 :: v_dual_mul_f32 v18, v25, v41
	ds_store_2addr_b64 v51, v[0:1], v[3:4] offset0:7 offset1:14
	ds_store_2addr_b64 v51, v[5:6], v[7:8] offset0:21 offset1:28
	v_mul_f32_e32 v1, v24, v41
	v_fmac_f32_e32 v14, v20, v36
	v_fma_f32 v15, v21, v36, -v10
	v_fmac_f32_e32 v16, v22, v38
	v_fmac_f32_e32 v18, v24, v40
	s_wait_loadcnt 0x8
	v_mul_f32_e32 v4, v26, v44
	v_mul_f32_e32 v0, v27, v44
	v_fma_f32 v19, v25, v40, -v1
	s_wait_loadcnt 0x7
	v_mul_f32_e32 v3, v57, v46
	v_mul_f32_e32 v6, v56, v46
	v_fma_f32 v17, v23, v38, -v17
	v_fma_f32 v1, v27, v43, -v4
	s_wait_loadcnt 0x6
	v_dual_fmac_f32 v0, v26, v43 :: v_dual_mul_f32 v5, v59, v48
	v_fma_f32 v4, v57, v45, -v6
	v_dual_mul_f32 v6, v58, v48 :: v_dual_fmac_f32 v3, v56, v45
	ds_store_2addr_b64 v51, v[14:15], v[16:17] offset0:35 offset1:42
	s_wait_loadcnt 0x5
	v_mul_f32_e32 v8, v66, v50
	v_mul_f32_e32 v7, v67, v50
	v_fma_f32 v6, v59, v47, -v6
	s_wait_loadcnt 0x2
	v_dual_mul_f32 v15, v69, v54 :: v_dual_mul_f32 v20, v71, v75
	v_mul_f32_e32 v10, v68, v54
	v_mul_f32_e32 v14, v70, v75
	s_wait_loadcnt 0x0
	v_dual_fmac_f32 v5, v58, v47 :: v_dual_mul_f32 v22, v73, v77
	v_mul_f32_e32 v17, v72, v77
	v_fmac_f32_e32 v7, v66, v49
	v_fma_f32 v8, v67, v49, -v8
	v_dual_fmac_f32 v15, v68, v53 :: v_dual_fmac_f32 v20, v70, v74
	v_fma_f32 v16, v69, v53, -v10
	v_fma_f32 v21, v71, v74, -v14
	v_fmac_f32_e32 v22, v72, v76
	v_fma_f32 v23, v73, v76, -v17
	v_fma_f32 v14, v9, v2, -v81
	ds_store_2addr_b64 v51, v[18:19], v[11:12] offset0:49 offset1:56
	ds_store_2addr_b64 v51, v[0:1], v[3:4] offset0:63 offset1:70
	;; [unrolled: 1-line block ×5, first 2 shown]
.LBB0_3:
	s_or_b32 exec_lo, exec_lo, s3
	s_clause 0x1
	s_load_b64 s[2:3], s[0:1], 0x20
	s_load_b64 s[4:5], s[0:1], 0x8
	v_mov_b32_e32 v20, 0
	v_mov_b32_e32 v21, 0
	global_wb scope:SCOPE_SE
	s_wait_dscnt 0x0
	s_wait_kmcnt 0x0
	s_barrier_signal -1
	s_barrier_wait -1
	global_inv scope:SCOPE_SE
                                        ; implicit-def: $vgpr27
                                        ; implicit-def: $vgpr31
                                        ; implicit-def: $vgpr39
                                        ; implicit-def: $vgpr32
                                        ; implicit-def: $vgpr12
                                        ; implicit-def: $vgpr42
                                        ; implicit-def: $vgpr46
                                        ; implicit-def: $vgpr50
	s_and_saveexec_b32 s0, vcc_lo
	s_cbranch_execz .LBB0_5
; %bb.4:
	v_lshl_add_u32 v0, v55, 3, v62
	ds_load_2addr_b64 v[20:23], v0 offset1:7
	ds_load_2addr_b64 v[48:51], v0 offset0:14 offset1:21
	ds_load_2addr_b64 v[44:47], v0 offset0:28 offset1:35
	;; [unrolled: 1-line block ×7, first 2 shown]
	ds_load_b64 v[12:13], v0 offset:896
.LBB0_5:
	s_wait_alu 0xfffe
	s_or_b32 exec_lo, exec_lo, s0
	s_wait_dscnt 0x0
	v_dual_sub_f32 v9, v23, v13 :: v_dual_sub_f32 v8, v22, v12
	v_dual_add_f32 v80, v12, v22 :: v_dual_add_f32 v81, v13, v23
	v_dual_add_f32 v86, v34, v48 :: v_dual_sub_f32 v17, v49, v35
	s_delay_alu instid0(VALU_DEP_3) | instskip(SKIP_2) | instid1(VALU_DEP_4)
	v_dual_mul_f32 v56, 0xbeb8f4ab, v9 :: v_dual_mul_f32 v57, 0xbeb8f4ab, v8
	v_sub_f32_e32 v134, v45, v27
	v_sub_f32_e32 v18, v50, v32
	v_dual_mul_f32 v58, 0xbf2c7751, v17 :: v_dual_mul_f32 v71, 0xbf2c7751, v8
	s_delay_alu instid0(VALU_DEP_4) | instskip(SKIP_3) | instid1(VALU_DEP_4)
	v_fma_f32 v1, 0x3f6eb680, v81, -v57
	v_sub_f32_e32 v16, v48, v34
	v_dual_fmamk_f32 v0, v80, 0x3f6eb680, v56 :: v_dual_sub_f32 v19, v51, v33
	v_dual_add_f32 v88, v33, v51 :: v_dual_sub_f32 v143, v46, v24
	v_add_f32_e32 v1, v1, v21
	s_delay_alu instid0(VALU_DEP_4) | instskip(NEXT) | instid1(VALU_DEP_3)
	v_dual_add_f32 v90, v35, v49 :: v_dual_mul_f32 v59, 0xbf2c7751, v16
	v_dual_sub_f32 v66, v44, v26 :: v_dual_mul_f32 v73, 0xbf763a35, v143
	v_dual_mul_f32 v69, 0xbf7ee86f, v134 :: v_dual_add_f32 v0, v0, v20
	v_mul_f32_e32 v67, 0xbf65296c, v18
	s_delay_alu instid0(VALU_DEP_4) | instskip(SKIP_3) | instid1(VALU_DEP_4)
	v_fma_f32 v3, 0x3f3d2fb0, v90, -v59
	v_dual_mul_f32 v68, 0xbf2c7751, v9 :: v_dual_add_f32 v87, v32, v50
	v_fmamk_f32 v2, v86, 0x3f3d2fb0, v58
	v_dual_add_f32 v100, v27, v45 :: v_dual_sub_f32 v149, v42, v28
	v_add_f32_e32 v1, v3, v1
	v_fma_f32 v3, 0x3ee437d1, v88, -v67
	v_mul_f32_e32 v60, 0xbf65296c, v19
	v_mul_f32_e32 v70, 0xbf7ee86f, v66
	v_dual_add_f32 v0, v2, v0 :: v_dual_add_f32 v103, v25, v47
	s_delay_alu instid0(VALU_DEP_4) | instskip(NEXT) | instid1(VALU_DEP_4)
	v_add_f32_e32 v1, v3, v1
	v_dual_fmamk_f32 v2, v87, 0x3ee437d1, v60 :: v_dual_sub_f32 v145, v40, v30
	s_delay_alu instid0(VALU_DEP_4) | instskip(SKIP_1) | instid1(VALU_DEP_3)
	v_fma_f32 v3, 0x3dbcf732, v100, -v70
	v_dual_add_f32 v98, v26, v44 :: v_dual_add_f32 v105, v31, v41
	v_dual_add_f32 v0, v2, v0 :: v_dual_mul_f32 v75, 0xbf4c4adb, v145
	v_dual_sub_f32 v144, v47, v25 :: v_dual_add_f32 v107, v29, v43
	s_delay_alu instid0(VALU_DEP_4) | instskip(SKIP_2) | instid1(VALU_DEP_4)
	v_add_f32_e32 v1, v3, v1
	v_fma_f32 v3, 0xbe8c1d8e, v103, -v73
	v_dual_add_f32 v102, v24, v46 :: v_dual_mul_f32 v77, 0xbf06c442, v149
	v_dual_mul_f32 v72, 0xbf763a35, v144 :: v_dual_sub_f32 v161, v37, v39
	s_delay_alu instid0(VALU_DEP_3)
	v_add_f32_e32 v1, v3, v1
	v_fma_f32 v3, 0xbf1a4643, v105, -v75
	v_fmamk_f32 v2, v98, 0x3dbcf732, v69
	v_dual_sub_f32 v160, v36, v38 :: v_dual_mul_f32 v101, 0x3f763a35, v145
	v_sub_f32_e32 v146, v41, v31
	v_dual_add_f32 v104, v30, v40 :: v_dual_mul_f32 v91, 0xbf7ee86f, v17
	v_dual_sub_f32 v148, v43, v29 :: v_dual_mul_f32 v97, 0xbf7ee86f, v16
	v_dual_add_f32 v1, v3, v1 :: v_dual_add_f32 v0, v2, v0
	v_add_f32_e32 v115, v39, v37
	v_fma_f32 v3, 0xbf59a7d5, v107, -v77
	v_fmamk_f32 v2, v102, 0xbe8c1d8e, v72
	v_mul_f32_e32 v79, 0xbe3c28d5, v160
	v_mul_f32_e32 v74, 0xbf4c4adb, v146
	;; [unrolled: 1-line block ×3, first 2 shown]
	v_dual_add_f32 v106, v28, v42 :: v_dual_mul_f32 v99, 0x3f06c442, v143
	v_dual_mul_f32 v76, 0xbf06c442, v148 :: v_dual_add_f32 v1, v3, v1
	v_dual_add_f32 v0, v2, v0 :: v_dual_mul_f32 v95, 0xbf4c4adb, v18
	s_delay_alu instid0(VALU_DEP_4) | instskip(SKIP_4) | instid1(VALU_DEP_4)
	v_fmamk_f32 v6, v86, 0xbf1a4643, v110
	v_fmamk_f32 v2, v104, 0xbf1a4643, v74
	v_dual_add_f32 v114, v38, v36 :: v_dual_mul_f32 v85, 0x3f65296c, v149
	v_mul_f32_e32 v78, 0xbe3c28d5, v161
	v_fma_f32 v5, 0x3f3d2fb0, v81, -v71
	v_dual_add_f32 v0, v2, v0 :: v_dual_mul_f32 v93, 0xbe3c28d5, v134
	v_fmamk_f32 v2, v106, 0xbf59a7d5, v76
	v_mul_f32_e32 v117, 0x3e3c28d5, v19
	v_mul_f32_e32 v96, 0xbe3c28d5, v66
	;; [unrolled: 1-line block ×4, first 2 shown]
	v_add_f32_e32 v0, v2, v0
	v_fmamk_f32 v2, v114, 0xbf7ba420, v78
	v_mul_f32_e32 v121, 0xbf65296c, v8
	v_fma_f32 v3, 0xbf7ba420, v115, -v79
	v_mul_f32_e32 v109, 0x3f2c7751, v144
	v_mul_f32_e32 v125, 0x3f2c7751, v143
	v_dual_add_f32 v53, v2, v0 :: v_dual_add_f32 v2, v5, v21
	v_fma_f32 v5, 0x3dbcf732, v90, -v97
	v_add_f32_e32 v54, v3, v1
	v_fmamk_f32 v0, v86, 0x3dbcf732, v91
	v_dual_mul_f32 v84, 0x3eb8f4ab, v161 :: v_dual_mul_f32 v127, 0x3eb8f4ab, v134
	s_delay_alu instid0(VALU_DEP_4) | instskip(SKIP_2) | instid1(VALU_DEP_4)
	v_add_f32_e32 v2, v5, v2
	v_fma_f32 v5, 0xbf1a4643, v88, -v95
	v_mul_f32_e32 v153, 0x3f06c442, v17
	v_fmamk_f32 v3, v114, 0x3f6eb680, v84
	v_dual_mul_f32 v175, 0x3f65296c, v160 :: v_dual_mul_f32 v186, 0x3f65296c, v17
	s_delay_alu instid0(VALU_DEP_4)
	v_add_f32_e32 v2, v5, v2
	v_fma_f32 v5, 0xbf7ba420, v100, -v96
	v_mul_f32_e32 v94, 0x3f06c442, v144
	v_mul_f32_e32 v123, 0x3e3c28d5, v18
	v_fma_f32 v188, 0x3ee437d1, v86, -v186
	v_fmamk_f32 v14, v86, 0xbf59a7d5, v153
	v_add_f32_e32 v2, v5, v2
	v_fma_f32 v5, 0xbf59a7d5, v103, -v99
	v_mul_f32_e32 v116, 0x3f763a35, v134
	v_mul_f32_e32 v82, 0x3f763a35, v146
	v_dual_mul_f32 v108, 0xbf65296c, v9 :: v_dual_mul_f32 v129, 0xbf65296c, v144
	s_delay_alu instid0(VALU_DEP_4) | instskip(SKIP_4) | instid1(VALU_DEP_4)
	v_add_f32_e32 v2, v5, v2
	v_fma_f32 v5, 0xbe8c1d8e, v105, -v101
	v_mul_f32_e32 v111, 0xbeb8f4ab, v146
	v_mul_f32_e32 v112, 0xbf7ee86f, v148
	;; [unrolled: 1-line block ×3, first 2 shown]
	v_dual_mul_f32 v122, 0xbf4c4adb, v16 :: v_dual_add_f32 v1, v5, v2
	v_fma_f32 v2, 0x3ee437d1, v107, -v85
	v_fmamk_f32 v4, v80, 0x3f3d2fb0, v68
	v_mul_f32_e32 v113, 0xbf06c442, v161
	v_mul_f32_e32 v124, 0x3f763a35, v66
	s_delay_alu instid0(VALU_DEP_4) | instskip(NEXT) | instid1(VALU_DEP_4)
	v_dual_mul_f32 v126, 0x3f763a35, v19 :: v_dual_add_f32 v1, v2, v1
	v_add_f32_e32 v4, v4, v20
	v_mul_f32_e32 v92, 0xbf4c4adb, v19
	v_fmamk_f32 v2, v80, 0x3ee437d1, v108
	v_fmamk_f32 v7, v114, 0xbf59a7d5, v113
	v_dual_mul_f32 v120, 0xbf7ee86f, v149 :: v_dual_mul_f32 v139, 0xbf7ee86f, v8
	v_add_f32_e32 v0, v0, v4
	s_delay_alu instid0(VALU_DEP_4) | instskip(SKIP_3) | instid1(VALU_DEP_4)
	v_dual_fmamk_f32 v4, v87, 0xbf1a4643, v92 :: v_dual_add_f32 v5, v2, v20
	v_mul_f32_e32 v131, 0xbe3c28d5, v17
	v_mul_f32_e32 v132, 0xbf06c442, v146
	;; [unrolled: 1-line block ×3, first 2 shown]
	v_add_f32_e32 v0, v4, v0
	v_fmamk_f32 v4, v98, 0xbf7ba420, v93
	v_mul_f32_e32 v140, 0xbe3c28d5, v16
	v_mul_f32_e32 v135, 0xbf65296c, v143
	v_dual_mul_f32 v142, 0x3f763a35, v18 :: v_dual_mul_f32 v179, 0x3f763a35, v16
	s_delay_alu instid0(VALU_DEP_4)
	v_add_f32_e32 v0, v4, v0
	v_fmamk_f32 v4, v102, 0xbf59a7d5, v94
	v_fma_f32 v10, 0xbf7ba420, v90, -v140
	v_mul_f32_e32 v138, 0x3eb8f4ab, v66
	v_mul_f32_e32 v118, 0xbf06c442, v160
	v_dual_mul_f32 v136, 0xbf06c442, v145 :: v_dual_mul_f32 v171, 0xbf06c442, v134
	v_add_f32_e32 v0, v4, v0
	v_fmamk_f32 v4, v104, 0xbe8c1d8e, v82
	v_mul_f32_e32 v130, 0x3f4c4adb, v148
	v_mul_f32_e32 v158, 0x3f2c7751, v19
	v_fmac_f32_e32 v186, 0x3ee437d1, v86
	v_mul_f32_e32 v141, 0x3f2c7751, v160
	v_add_f32_e32 v0, v4, v0
	v_fmamk_f32 v4, v106, 0x3ee437d1, v83
	v_mul_f32_e32 v150, 0x3f7ee86f, v146
	v_mul_f32_e32 v154, 0xbf763a35, v9
	;; [unrolled: 1-line block ×4, first 2 shown]
	v_add_f32_e32 v0, v4, v0
	v_fma_f32 v4, 0x3f6eb680, v115, -v89
	v_mul_f32_e32 v152, 0xbe3c28d5, v144
	v_mul_f32_e32 v137, 0x3f4c4adb, v149
	;; [unrolled: 1-line block ×3, first 2 shown]
	v_add_f32_e32 v2, v3, v0
	v_fma_f32 v0, 0x3ee437d1, v81, -v121
	v_add_f32_e32 v3, v6, v5
	v_fmamk_f32 v5, v87, 0xbf7ba420, v117
	v_fma_f32 v6, 0xbf1a4643, v90, -v122
	v_fma_f32 v184, 0x3ee437d1, v115, -v175
	v_add_f32_e32 v0, v0, v21
	s_delay_alu instid0(VALU_DEP_4) | instskip(SKIP_2) | instid1(VALU_DEP_4)
	v_dual_mul_f32 v164, 0x3f2c7751, v18 :: v_dual_add_f32 v3, v5, v3
	v_fmamk_f32 v5, v98, 0xbe8c1d8e, v116
	v_mul_f32_e32 v162, 0xbe3c28d5, v143
	v_add_f32_e32 v0, v6, v0
	v_fma_f32 v6, 0xbf7ba420, v88, -v123
	v_mul_f32_e32 v155, 0xbf65296c, v134
	v_add_f32_e32 v3, v5, v3
	v_fmamk_f32 v5, v102, 0x3f3d2fb0, v109
	v_dual_mul_f32 v151, 0xbeb8f4ab, v148 :: v_dual_mul_f32 v156, 0xbeb8f4ab, v149
	v_add_f32_e32 v0, v6, v0
	v_fma_f32 v6, 0xbe8c1d8e, v100, -v124
	s_delay_alu instid0(VALU_DEP_4) | instskip(SKIP_2) | instid1(VALU_DEP_4)
	v_add_f32_e32 v3, v5, v3
	v_fmamk_f32 v5, v104, 0x3f6eb680, v111
	v_mul_f32_e32 v182, 0xbf4c4adb, v8
	v_dual_mul_f32 v163, 0xbf65296c, v66 :: v_dual_add_f32 v0, v6, v0
	v_fma_f32 v6, 0x3f3d2fb0, v103, -v125
	s_delay_alu instid0(VALU_DEP_4)
	v_add_f32_e32 v3, v5, v3
	v_fmamk_f32 v5, v106, 0x3dbcf732, v112
	v_mul_f32_e32 v172, 0xbeb8f4ab, v19
	v_mul_f32_e32 v174, 0x3f763a35, v17
	v_add_f32_e32 v0, v6, v0
	v_fma_f32 v6, 0x3f6eb680, v105, -v119
	v_add_f32_e32 v5, v5, v3
	v_add_f32_e32 v3, v4, v1
	v_fma_f32 v4, 0x3dbcf732, v107, -v120
	v_fma_f32 v167, 0xbe8c1d8e, v90, -v179
	v_add_f32_e32 v1, v6, v0
	v_fma_f32 v6, 0x3dbcf732, v81, -v139
	v_dual_add_f32 v0, v7, v5 :: v_dual_fmamk_f32 v7, v86, 0xbf7ba420, v131
	v_fma_f32 v5, 0xbf59a7d5, v115, -v118
	s_delay_alu instid0(VALU_DEP_4) | instskip(SKIP_4) | instid1(VALU_DEP_4)
	v_add_f32_e32 v1, v4, v1
	v_fmamk_f32 v4, v80, 0x3dbcf732, v128
	v_add_f32_e32 v6, v6, v21
	v_mul_f32_e32 v159, 0x3f7ee86f, v145
	v_mul_f32_e32 v147, 0xbf4c4adb, v161
	v_dual_add_f32 v1, v5, v1 :: v_dual_add_f32 v4, v4, v20
	s_delay_alu instid0(VALU_DEP_4) | instskip(SKIP_4) | instid1(VALU_DEP_4)
	v_add_f32_e32 v6, v10, v6
	v_fma_f32 v10, 0xbe8c1d8e, v88, -v142
	v_mul_f32_e32 v173, 0xbf4c4adb, v9
	v_dual_mul_f32 v180, 0xbeb8f4ab, v18 :: v_dual_mul_f32 v195, 0xbeb8f4ab, v143
	v_add_f32_e32 v4, v7, v4
	v_dual_fmamk_f32 v7, v87, 0xbe8c1d8e, v126 :: v_dual_add_f32 v6, v10, v6
	v_fma_f32 v10, 0x3f6eb680, v100, -v138
	v_mul_f32_e32 v170, 0x3f7ee86f, v144
	v_mul_f32_e32 v178, 0x3f7ee86f, v143
	s_delay_alu instid0(VALU_DEP_4) | instskip(NEXT) | instid1(VALU_DEP_4)
	v_dual_add_f32 v4, v7, v4 :: v_dual_fmamk_f32 v7, v98, 0x3f6eb680, v127
	v_add_f32_e32 v6, v10, v6
	v_fma_f32 v10, 0x3ee437d1, v103, -v135
	v_mul_f32_e32 v169, 0xbf2c7751, v146
	v_mul_f32_e32 v168, 0xbe3c28d5, v148
	v_dual_add_f32 v4, v7, v4 :: v_dual_fmamk_f32 v7, v102, 0x3ee437d1, v129
	s_delay_alu instid0(VALU_DEP_4) | instskip(SKIP_4) | instid1(VALU_DEP_4)
	v_add_f32_e32 v6, v10, v6
	v_fma_f32 v10, 0xbf59a7d5, v105, -v136
	v_mul_f32_e32 v181, 0xbf06c442, v66
	v_mul_f32_e32 v157, 0xbf4c4adb, v160
	v_dual_add_f32 v4, v7, v4 :: v_dual_fmamk_f32 v7, v104, 0xbf59a7d5, v132
	v_add_f32_e32 v5, v10, v6
	v_fma_f32 v6, 0xbf1a4643, v107, -v137
	v_fma_f32 v10, 0x3f3d2fb0, v115, -v141
	v_mul_f32_e32 v176, 0xbe3c28d5, v149
	v_dual_add_f32 v4, v7, v4 :: v_dual_fmamk_f32 v7, v106, 0xbf1a4643, v130
	s_delay_alu instid0(VALU_DEP_4) | instskip(SKIP_2) | instid1(VALU_DEP_4)
	v_dual_add_f32 v5, v6, v5 :: v_dual_fmamk_f32 v6, v80, 0xbe8c1d8e, v154
	v_mul_f32_e32 v177, 0xbf2c7751, v145
	v_mul_f32_e32 v192, 0x3f4c4adb, v134
	v_dual_add_f32 v4, v7, v4 :: v_dual_fmamk_f32 v7, v114, 0x3f3d2fb0, v133
	s_delay_alu instid0(VALU_DEP_4)
	v_add_f32_e32 v11, v6, v20
	v_mul_f32_e32 v194, 0xbeb8f4ab, v144
	v_mul_f32_e32 v193, 0x3f4c4adb, v66
	;; [unrolled: 1-line block ×3, first 2 shown]
	v_add_f32_e32 v6, v7, v4
	v_fma_f32 v4, 0xbe8c1d8e, v81, -v165
	v_add_f32_e32 v7, v14, v11
	v_fmamk_f32 v11, v87, 0x3f3d2fb0, v158
	v_fma_f32 v14, 0xbf59a7d5, v90, -v166
	v_mul_f32_e32 v134, 0x3f2c7751, v134
	v_add_f32_e32 v4, v4, v21
	s_delay_alu instid0(VALU_DEP_4)
	v_dual_mul_f32 v144, 0xbf4c4adb, v144 :: v_dual_add_f32 v7, v11, v7
	v_fmamk_f32 v11, v98, 0x3ee437d1, v155
	v_mul_f32_e32 v183, 0xbf06c442, v8
	v_mul_f32_e32 v66, 0x3f2c7751, v66
	global_wb scope:SCOPE_SE
	s_barrier_signal -1
	v_add_f32_e32 v7, v11, v7
	v_fmamk_f32 v11, v102, 0xbf7ba420, v152
	v_add_f32_e32 v4, v14, v4
	v_fma_f32 v14, 0x3f3d2fb0, v88, -v164
	v_mul_f32_e32 v187, 0x3f65296c, v16
	s_delay_alu instid0(VALU_DEP_4) | instskip(NEXT) | instid1(VALU_DEP_3)
	v_dual_mul_f32 v16, 0x3eb8f4ab, v16 :: v_dual_add_f32 v7, v11, v7
	v_dual_fmamk_f32 v11, v104, 0x3dbcf732, v150 :: v_dual_add_f32 v4, v14, v4
	v_fma_f32 v14, 0x3ee437d1, v100, -v163
	s_delay_alu instid0(VALU_DEP_4) | instskip(SKIP_1) | instid1(VALU_DEP_3)
	v_fmamk_f32 v190, v90, 0x3ee437d1, v187
	s_barrier_wait -1
	v_add_f32_e32 v7, v11, v7
	v_fmamk_f32 v11, v106, 0x3f6eb680, v151
	v_add_f32_e32 v4, v14, v4
	v_fma_f32 v14, 0xbf7ba420, v103, -v162
	global_inv scope:SCOPE_SE
	v_mul_f32_e32 v197, 0x3f2c7751, v148
	v_add_f32_e32 v11, v11, v7
	v_add_f32_e32 v7, v10, v5
	v_add_f32_e32 v4, v14, v4
	v_fma_f32 v14, 0x3dbcf732, v105, -v159
	v_fma_f32 v10, 0x3f6eb680, v107, -v156
	v_mul_f32_e32 v17, 0x3eb8f4ab, v17
	v_mul_f32_e32 v143, 0xbf4c4adb, v143
	s_delay_alu instid0(VALU_DEP_4) | instskip(SKIP_1) | instid1(VALU_DEP_2)
	v_add_f32_e32 v5, v14, v4
	v_fma_f32 v14, 0xbf1a4643, v81, -v182
	v_dual_add_f32 v5, v10, v5 :: v_dual_fmamk_f32 v10, v80, 0xbf1a4643, v173
	s_delay_alu instid0(VALU_DEP_2) | instskip(SKIP_1) | instid1(VALU_DEP_3)
	v_add_f32_e32 v14, v14, v21
	v_fmamk_f32 v15, v114, 0xbf1a4643, v147
	v_add_f32_e32 v10, v10, v20
	s_delay_alu instid0(VALU_DEP_3) | instskip(NEXT) | instid1(VALU_DEP_3)
	v_add_f32_e32 v14, v167, v14
	v_add_f32_e32 v4, v15, v11
	v_fma_f32 v167, 0x3f6eb680, v88, -v180
	v_fmamk_f32 v15, v86, 0xbe8c1d8e, v174
	v_fma_f32 v11, 0xbf1a4643, v115, -v157
	s_delay_alu instid0(VALU_DEP_3) | instskip(NEXT) | instid1(VALU_DEP_3)
	v_add_f32_e32 v14, v167, v14
	v_add_f32_e32 v10, v15, v10
	v_fmamk_f32 v15, v87, 0x3f6eb680, v172
	v_fma_f32 v167, 0xbf59a7d5, v100, -v181
	v_add_f32_e32 v5, v11, v5
	s_delay_alu instid0(VALU_DEP_3) | instskip(NEXT) | instid1(VALU_DEP_3)
	v_dual_add_f32 v10, v15, v10 :: v_dual_fmamk_f32 v15, v98, 0xbf59a7d5, v171
	v_add_f32_e32 v14, v167, v14
	v_fma_f32 v167, 0x3dbcf732, v103, -v178
	s_delay_alu instid0(VALU_DEP_3) | instskip(NEXT) | instid1(VALU_DEP_2)
	v_dual_add_f32 v10, v15, v10 :: v_dual_fmamk_f32 v15, v102, 0x3dbcf732, v170
	v_add_f32_e32 v14, v167, v14
	v_fma_f32 v167, 0x3f3d2fb0, v105, -v177
	s_delay_alu instid0(VALU_DEP_3) | instskip(NEXT) | instid1(VALU_DEP_1)
	v_dual_add_f32 v10, v15, v10 :: v_dual_fmamk_f32 v15, v104, 0x3f3d2fb0, v169
	v_dual_add_f32 v10, v15, v10 :: v_dual_fmamk_f32 v15, v106, 0xbf7ba420, v168
	s_delay_alu instid0(VALU_DEP_3) | instskip(SKIP_2) | instid1(VALU_DEP_4)
	v_add_f32_e32 v11, v167, v14
	v_mul_f32_e32 v167, 0x3f65296c, v161
	v_fma_f32 v14, 0xbf7ba420, v107, -v176
	v_dual_add_f32 v10, v15, v10 :: v_dual_mul_f32 v15, 0xbf06c442, v9
	v_mul_f32_e32 v9, 0xbe3c28d5, v9
	s_delay_alu instid0(VALU_DEP_3) | instskip(SKIP_1) | instid1(VALU_DEP_4)
	v_add_f32_e32 v11, v14, v11
	v_fmamk_f32 v14, v114, 0x3ee437d1, v167
	v_fma_f32 v185, 0xbf59a7d5, v80, -v15
	v_fmac_f32_e32 v15, 0xbf59a7d5, v80
	s_delay_alu instid0(VALU_DEP_3) | instskip(SKIP_1) | instid1(VALU_DEP_4)
	v_dual_add_f32 v11, v184, v11 :: v_dual_add_f32 v10, v14, v10
	v_fmamk_f32 v14, v81, 0xbf59a7d5, v183
	v_add_f32_e32 v185, v185, v20
	v_mul_f32_e32 v189, 0xbf7ee86f, v19
	v_fmamk_f32 v184, v103, 0x3f6eb680, v195
	s_delay_alu instid0(VALU_DEP_4) | instskip(NEXT) | instid1(VALU_DEP_4)
	v_dual_add_f32 v15, v15, v20 :: v_dual_add_f32 v14, v14, v21
	v_add_f32_e32 v185, v188, v185
	s_delay_alu instid0(VALU_DEP_4) | instskip(SKIP_1) | instid1(VALU_DEP_4)
	v_fma_f32 v188, 0x3dbcf732, v87, -v189
	v_fmac_f32_e32 v189, 0x3dbcf732, v87
	v_add_f32_e32 v15, v186, v15
	v_add_f32_e32 v14, v190, v14
	s_delay_alu instid0(VALU_DEP_4) | instskip(SKIP_1) | instid1(VALU_DEP_4)
	v_dual_fmamk_f32 v186, v107, 0x3f3d2fb0, v198 :: v_dual_add_f32 v185, v188, v185
	v_fma_f32 v188, 0xbf1a4643, v98, -v192
	v_dual_add_f32 v15, v189, v15 :: v_dual_fmac_f32 v192, 0xbf1a4643, v98
	v_fma_f32 v183, 0xbf59a7d5, v81, -v183
	v_mul_f32_e32 v19, 0xbf06c442, v19
	s_delay_alu instid0(VALU_DEP_4) | instskip(SKIP_1) | instid1(VALU_DEP_1)
	v_add_f32_e32 v185, v188, v185
	v_fma_f32 v188, 0x3f6eb680, v102, -v194
	v_dual_fmac_f32 v194, 0x3f6eb680, v102 :: v_dual_add_f32 v185, v188, v185
	v_mul_f32_e32 v191, 0xbf7ee86f, v18
	v_mul_f32_e32 v188, 0xbe3c28d5, v146
	;; [unrolled: 1-line block ×4, first 2 shown]
	s_delay_alu instid0(VALU_DEP_4) | instskip(NEXT) | instid1(VALU_DEP_1)
	v_fmamk_f32 v190, v88, 0x3dbcf732, v191
	v_add_f32_e32 v14, v190, v14
	v_fmamk_f32 v190, v100, 0xbf1a4643, v193
	s_delay_alu instid0(VALU_DEP_1) | instskip(SKIP_1) | instid1(VALU_DEP_2)
	v_add_f32_e32 v14, v190, v14
	v_mul_f32_e32 v190, 0xbe3c28d5, v145
	v_dual_mul_f32 v145, 0x3f65296c, v145 :: v_dual_add_f32 v14, v184, v14
	v_fma_f32 v184, 0xbf7ba420, v104, -v188
	s_delay_alu instid0(VALU_DEP_3) | instskip(NEXT) | instid1(VALU_DEP_2)
	v_fmamk_f32 v196, v105, 0xbf7ba420, v190
	v_add_f32_e32 v184, v184, v185
	v_fma_f32 v185, 0x3f3d2fb0, v106, -v197
	s_delay_alu instid0(VALU_DEP_3) | instskip(NEXT) | instid1(VALU_DEP_2)
	v_add_f32_e32 v14, v196, v14
	v_dual_fmac_f32 v197, 0x3f3d2fb0, v106 :: v_dual_add_f32 v184, v185, v184
	s_delay_alu instid0(VALU_DEP_2) | instskip(SKIP_3) | instid1(VALU_DEP_4)
	v_dual_add_f32 v185, v186, v14 :: v_dual_mul_f32 v186, 0xbf763a35, v161
	v_dual_add_f32 v14, v192, v15 :: v_dual_add_f32 v15, v183, v21
	v_fma_f32 v183, 0x3ee437d1, v90, -v187
	v_mul_f32_e32 v187, 0xbf763a35, v160
	v_fma_f32 v189, 0xbe8c1d8e, v114, -v186
	s_delay_alu instid0(VALU_DEP_4) | instskip(NEXT) | instid1(VALU_DEP_4)
	v_add_f32_e32 v192, v194, v14
	v_dual_fmac_f32 v186, 0xbe8c1d8e, v114 :: v_dual_add_f32 v15, v183, v15
	v_fma_f32 v183, 0x3dbcf732, v88, -v191
	s_delay_alu instid0(VALU_DEP_4)
	v_add_f32_e32 v14, v189, v184
	v_mul_f32_e32 v189, 0xbe3c28d5, v8
	v_fmac_f32_e32 v188, 0xbf7ba420, v104
	v_fmamk_f32 v191, v115, 0xbe8c1d8e, v187
	v_add_f32_e32 v183, v183, v15
	v_fma_f32 v187, 0xbe8c1d8e, v115, -v187
	s_delay_alu instid0(VALU_DEP_4) | instskip(SKIP_3) | instid1(VALU_DEP_3)
	v_add_f32_e32 v184, v188, v192
	v_fma_f32 v188, 0xbf1a4643, v100, -v193
	v_add_f32_e32 v15, v191, v185
	v_fma_f32 v185, 0x3f6eb680, v103, -v195
	v_dual_add_f32 v184, v197, v184 :: v_dual_add_f32 v183, v188, v183
	v_fma_f32 v188, 0xbf7ba420, v80, -v9
	v_fmac_f32_e32 v9, 0xbf7ba420, v80
	s_delay_alu instid0(VALU_DEP_3)
	v_add_f32_e32 v183, v185, v183
	v_fma_f32 v185, 0x3f6eb680, v86, -v17
	v_dual_fmac_f32 v17, 0x3f6eb680, v86 :: v_dual_add_f32 v8, v186, v184
	v_add_f32_e32 v184, v188, v20
	v_add_f32_e32 v9, v9, v20
	v_fma_f32 v188, 0xbf7ba420, v105, -v190
	v_fma_f32 v190, 0xbf59a7d5, v87, -v19
	s_delay_alu instid0(VALU_DEP_4) | instskip(NEXT) | instid1(VALU_DEP_4)
	v_dual_fmac_f32 v19, 0xbf59a7d5, v87 :: v_dual_add_f32 v184, v185, v184
	v_add_f32_e32 v9, v17, v9
	s_delay_alu instid0(VALU_DEP_4) | instskip(SKIP_2) | instid1(VALU_DEP_4)
	v_add_f32_e32 v183, v188, v183
	v_fma_f32 v188, 0x3f3d2fb0, v98, -v134
	v_fmac_f32_e32 v134, 0x3f3d2fb0, v98
	v_dual_add_f32 v184, v190, v184 :: v_dual_add_f32 v9, v19, v9
	v_fma_f32 v17, 0xbf59a7d5, v88, -v18
	v_fma_f32 v190, 0x3f3d2fb0, v107, -v198
	s_delay_alu instid0(VALU_DEP_3) | instskip(SKIP_4) | instid1(VALU_DEP_4)
	v_add_f32_e32 v184, v188, v184
	v_fma_f32 v188, 0xbf1a4643, v102, -v144
	v_dual_add_f32 v9, v134, v9 :: v_dual_fmac_f32 v144, 0xbf1a4643, v102
	v_fmamk_f32 v186, v81, 0xbf7ba420, v189
	v_mul_f32_e32 v134, 0x3f7ee86f, v161
	v_add_f32_e32 v184, v188, v184
	v_fma_f32 v188, 0x3ee437d1, v104, -v146
	v_add_f32_e32 v9, v144, v9
	v_add_f32_e32 v185, v186, v21
	v_fmamk_f32 v186, v90, 0x3f6eb680, v16
	v_fma_f32 v16, 0x3f6eb680, v90, -v16
	v_fmac_f32_e32 v146, 0x3ee437d1, v104
	v_dual_add_f32 v184, v188, v184 :: v_dual_add_f32 v183, v190, v183
	s_delay_alu instid0(VALU_DEP_4)
	v_dual_add_f32 v185, v186, v185 :: v_dual_fmamk_f32 v186, v88, 0xbf59a7d5, v18
	v_mul_f32_e32 v18, 0xbf763a35, v148
	v_mul_f32_e32 v148, 0xbf763a35, v149
	v_add_f32_e32 v9, v146, v9
	v_fma_f32 v144, 0x3dbcf732, v114, -v134
	v_dual_add_f32 v185, v186, v185 :: v_dual_fmamk_f32 v186, v100, 0x3f3d2fb0, v66
	v_fma_f32 v19, 0xbe8c1d8e, v106, -v18
	v_fmac_f32_e32 v18, 0xbe8c1d8e, v106
	s_delay_alu instid0(VALU_DEP_3) | instskip(SKIP_1) | instid1(VALU_DEP_3)
	v_dual_fmac_f32 v134, 0x3dbcf732, v114 :: v_dual_add_f32 v185, v186, v185
	v_fmamk_f32 v186, v103, 0xbf1a4643, v143
	v_dual_add_f32 v19, v19, v184 :: v_dual_add_f32 v18, v18, v9
	v_add_f32_e32 v9, v187, v183
	s_delay_alu instid0(VALU_DEP_3) | instskip(SKIP_1) | instid1(VALU_DEP_4)
	v_add_f32_e32 v185, v186, v185
	v_fma_f32 v186, 0xbf7ba420, v81, -v189
	v_dual_fmamk_f32 v189, v105, 0x3ee437d1, v145 :: v_dual_add_f32 v18, v134, v18
	s_delay_alu instid0(VALU_DEP_2) | instskip(NEXT) | instid1(VALU_DEP_1)
	v_add_f32_e32 v186, v186, v21
	v_dual_add_f32 v185, v189, v185 :: v_dual_add_f32 v16, v16, v186
	s_delay_alu instid0(VALU_DEP_1) | instskip(SKIP_2) | instid1(VALU_DEP_2)
	v_add_f32_e32 v16, v17, v16
	v_fma_f32 v17, 0x3f3d2fb0, v100, -v66
	v_fmamk_f32 v66, v107, 0xbe8c1d8e, v148
	v_add_f32_e32 v16, v17, v16
	v_fma_f32 v17, 0xbf1a4643, v103, -v143
	s_delay_alu instid0(VALU_DEP_3) | instskip(NEXT) | instid1(VALU_DEP_2)
	v_dual_mul_f32 v143, 0x3f7ee86f, v160 :: v_dual_add_f32 v66, v66, v185
	v_add_f32_e32 v16, v17, v16
	v_fma_f32 v17, 0x3ee437d1, v105, -v145
	s_delay_alu instid0(VALU_DEP_3) | instskip(SKIP_1) | instid1(VALU_DEP_3)
	v_fmamk_f32 v145, v115, 0x3dbcf732, v143
	v_fma_f32 v143, 0x3dbcf732, v115, -v143
	v_add_f32_e32 v16, v17, v16
	v_fma_f32 v17, 0xbe8c1d8e, v107, -v148
	s_delay_alu instid0(VALU_DEP_1) | instskip(SKIP_2) | instid1(VALU_DEP_3)
	v_add_f32_e32 v146, v17, v16
	v_dual_add_f32 v16, v144, v19 :: v_dual_add_f32 v17, v145, v66
	v_mul_lo_u16 v66, v64, 17
	v_add_f32_e32 v19, v143, v146
	s_and_saveexec_b32 s0, vcc_lo
	s_cbranch_execz .LBB0_7
; %bb.6:
	v_dual_mul_f32 v184, 0xbf1a4643, v80 :: v_dual_mul_f32 v185, 0xbf1a4643, v81
	v_mul_f32_e32 v187, 0x3dbcf732, v90
	v_mul_f32_e32 v195, 0xbe8c1d8e, v90
	v_dual_mul_f32 v134, 0x3f6eb680, v80 :: v_dual_mul_f32 v143, 0x3f6eb680, v81
	s_delay_alu instid0(VALU_DEP_4) | instskip(SKIP_1) | instid1(VALU_DEP_4)
	v_add_f32_e32 v182, v182, v185
	v_dual_mul_f32 v144, 0x3f3d2fb0, v80 :: v_dual_mul_f32 v145, 0x3f3d2fb0, v81
	v_dual_mul_f32 v146, 0x3ee437d1, v80 :: v_dual_add_f32 v179, v179, v195
	v_dual_mul_f32 v149, 0x3dbcf732, v80 :: v_dual_mul_f32 v160, 0x3dbcf732, v81
	v_dual_mul_f32 v161, 0xbe8c1d8e, v80 :: v_dual_mul_f32 v194, 0xbe8c1d8e, v86
	;; [unrolled: 1-line block ×8, first 2 shown]
	v_dual_mul_f32 v193, 0xbf59a7d5, v90 :: v_dual_add_f32 v182, v182, v21
	v_mul_f32_e32 v148, 0x3ee437d1, v81
	v_dual_mul_f32 v81, 0x3f3d2fb0, v90 :: v_dual_mul_f32 v202, 0x3f3d2fb0, v87
	v_mul_f32_e32 v90, 0x3ee437d1, v88
	v_dual_mul_f32 v201, 0xbe8c1d8e, v88 :: v_dual_mul_f32 v206, 0xbe8c1d8e, v98
	v_dual_mul_f32 v88, 0x3f6eb680, v88 :: v_dual_mul_f32 v207, 0x3f6eb680, v98
	;; [unrolled: 1-line block ×3, first 2 shown]
	v_sub_f32_e32 v173, v184, v173
	s_delay_alu instid0(VALU_DEP_3)
	v_add_f32_e32 v88, v180, v88
	v_sub_f32_e32 v174, v194, v174
	v_mul_f32_e32 v180, 0xbf59a7d5, v100
	v_mul_f32_e32 v192, 0xbf59a7d5, v86
	v_dual_mul_f32 v86, 0x3ee437d1, v87 :: v_dual_add_f32 v179, v179, v182
	v_dual_mul_f32 v184, 0xbe8c1d8e, v103 :: v_dual_add_f32 v173, v173, v20
	v_dual_mul_f32 v87, 0x3f6eb680, v87 :: v_dual_mul_f32 v208, 0x3f6eb680, v100
	s_delay_alu instid0(VALU_DEP_3) | instskip(NEXT) | instid1(VALU_DEP_3)
	v_dual_mul_f32 v203, 0x3dbcf732, v98 :: v_dual_add_f32 v88, v88, v179
	v_add_f32_e32 v173, v174, v173
	v_add_f32_e32 v179, v181, v180
	v_mul_f32_e32 v181, 0x3dbcf732, v103
	v_dual_mul_f32 v204, 0xbf7ba420, v98 :: v_dual_mul_f32 v205, 0xbf7ba420, v100
	v_dual_mul_f32 v180, 0x3ee437d1, v98 :: v_dual_sub_f32 v87, v87, v172
	v_mul_f32_e32 v98, 0xbf59a7d5, v98
	v_add_f32_e32 v88, v179, v88
	v_add_f32_e32 v178, v178, v181
	v_mul_f32_e32 v181, 0x3f3d2fb0, v105
	s_delay_alu instid0(VALU_DEP_4) | instskip(SKIP_2) | instid1(VALU_DEP_4)
	v_dual_add_f32 v87, v87, v173 :: v_dual_sub_f32 v98, v98, v171
	v_mul_f32_e32 v209, 0xbe8c1d8e, v104
	v_dual_mul_f32 v182, 0xbe8c1d8e, v100 :: v_dual_mul_f32 v179, 0xbe8c1d8e, v102
	v_add_f32_e32 v177, v177, v181
	v_dual_mul_f32 v181, 0x3f3d2fb0, v102 :: v_dual_add_f32 v88, v178, v88
	v_mul_f32_e32 v100, 0x3ee437d1, v100
	v_dual_mul_f32 v174, 0xbf7ba420, v107 :: v_dual_mul_f32 v173, 0xbf7ba420, v102
	v_mul_f32_e32 v171, 0x3ee437d1, v115
	v_mul_f32_e32 v194, 0xbf59a7d5, v102
	v_dual_add_f32 v88, v177, v88 :: v_dual_mul_f32 v177, 0x3ee437d1, v102
	v_dual_mul_f32 v102, 0x3dbcf732, v102 :: v_dual_add_f32 v87, v98, v87
	v_dual_add_f32 v98, v165, v183 :: v_dual_mul_f32 v183, 0x3f6eb680, v104
	v_dual_sub_f32 v154, v161, v154 :: v_dual_sub_f32 v155, v180, v155
	v_dual_mul_f32 v172, 0x3f3d2fb0, v103 :: v_dual_sub_f32 v153, v192, v153
	v_add_f32_e32 v174, v176, v174
	v_sub_f32_e32 v102, v102, v170
	v_dual_add_f32 v166, v166, v193 :: v_dual_mul_f32 v161, 0xbf59a7d5, v106
	v_add_f32_e32 v98, v98, v21
	v_add_f32_e32 v154, v154, v20
	v_mul_f32_e32 v170, 0x3f3d2fb0, v104
	v_mul_f32_e32 v178, 0xbf59a7d5, v103
	;; [unrolled: 1-line block ×4, first 2 shown]
	v_add_f32_e32 v171, v175, v171
	v_dual_mul_f32 v175, 0xbf1a4643, v105 :: v_dual_add_f32 v88, v174, v88
	v_mul_f32_e32 v165, 0xbe8c1d8e, v105
	v_mul_f32_e32 v193, 0x3f6eb680, v105
	v_dual_mul_f32 v174, 0xbf1a4643, v104 :: v_dual_add_f32 v87, v102, v87
	v_dual_add_f32 v100, v163, v100 :: v_dual_mul_f32 v163, 0x3dbcf732, v106
	v_add_f32_e32 v98, v166, v98
	v_dual_add_f32 v153, v153, v154 :: v_dual_sub_f32 v102, v170, v169
	v_add_f32_e32 v164, v164, v185
	v_dual_sub_f32 v158, v202, v158 :: v_dual_mul_f32 v169, 0xbf59a7d5, v104
	v_dual_mul_f32 v166, 0xbf59a7d5, v105 :: v_dual_add_f32 v103, v162, v103
	s_delay_alu instid0(VALU_DEP_2) | instskip(NEXT) | instid1(VALU_DEP_4)
	v_dual_mul_f32 v104, 0x3dbcf732, v104 :: v_dual_add_f32 v153, v158, v153
	v_dual_mul_f32 v105, 0x3dbcf732, v105 :: v_dual_add_f32 v98, v164, v98
	v_mul_f32_e32 v170, 0xbf59a7d5, v107
	v_dual_mul_f32 v185, 0x3ee437d1, v106 :: v_dual_mul_f32 v164, 0x3ee437d1, v107
	s_delay_alu instid0(VALU_DEP_4)
	v_add_f32_e32 v153, v155, v153
	v_mul_f32_e32 v155, 0x3f3d2fb0, v114
	v_add_f32_e32 v98, v100, v98
	v_mul_f32_e32 v100, 0xbf1a4643, v107
	v_sub_f32_e32 v152, v173, v152
	v_mul_f32_e32 v154, 0x3dbcf732, v107
	v_dual_mul_f32 v107, 0x3f6eb680, v107 :: v_dual_mul_f32 v162, 0x3f6eb680, v106
	v_dual_add_f32 v87, v102, v87 :: v_dual_mul_f32 v192, 0xbf1a4643, v106
	v_mul_f32_e32 v106, 0xbf7ba420, v106
	v_add_f32_e32 v98, v103, v98
	v_add_f32_e32 v103, v159, v105
	v_dual_add_f32 v121, v121, v148 :: v_dual_add_f32 v122, v122, v189
	s_delay_alu instid0(VALU_DEP_4) | instskip(SKIP_1) | instid1(VALU_DEP_4)
	v_sub_f32_e32 v102, v106, v168
	v_mul_f32_e32 v168, 0xbf59a7d5, v114
	v_dual_add_f32 v98, v103, v98 :: v_dual_add_f32 v103, v156, v107
	s_delay_alu instid0(VALU_DEP_4) | instskip(NEXT) | instid1(VALU_DEP_4)
	v_add_f32_e32 v121, v121, v21
	v_dual_add_f32 v173, v102, v87 :: v_dual_mul_f32 v102, 0xbf1a4643, v114
	v_add_f32_e32 v87, v171, v88
	s_delay_alu instid0(VALU_DEP_3)
	v_dual_add_f32 v88, v139, v160 :: v_dual_add_f32 v121, v122, v121
	v_mul_f32_e32 v105, 0xbf59a7d5, v115
	v_mul_f32_e32 v159, 0x3f3d2fb0, v115
	v_add_f32_e32 v107, v152, v153
	v_sub_f32_e32 v104, v104, v150
	v_add_f32_e32 v88, v88, v21
	v_dual_add_f32 v139, v140, v191 :: v_dual_sub_f32 v128, v149, v128
	v_dual_add_f32 v71, v71, v145 :: v_dual_mul_f32 v106, 0x3f6eb680, v115
	v_add_f32_e32 v122, v123, v199
	v_add_f32_e32 v98, v103, v98
	v_mul_f32_e32 v180, 0xbf7ba420, v115
	v_mul_f32_e32 v115, 0xbf1a4643, v115
	;; [unrolled: 1-line block ×4, first 2 shown]
	v_add_f32_e32 v104, v104, v107
	v_sub_f32_e32 v107, v162, v151
	v_dual_add_f32 v103, v157, v115 :: v_dual_add_f32 v88, v139, v88
	v_add_f32_e32 v115, v142, v201
	v_add_f32_e32 v22, v22, v20
	s_delay_alu instid0(VALU_DEP_3) | instskip(SKIP_1) | instid1(VALU_DEP_4)
	v_dual_sub_f32 v108, v146, v108 :: v_dual_add_f32 v103, v103, v98
	v_add_f32_e32 v98, v107, v104
	v_add_f32_e32 v88, v115, v88
	v_dual_add_f32 v104, v138, v208 :: v_dual_add_f32 v71, v71, v21
	v_add_f32_e32 v107, v128, v20
	v_sub_f32_e32 v115, v190, v131
	s_delay_alu instid0(VALU_DEP_3) | instskip(SKIP_2) | instid1(VALU_DEP_4)
	v_dual_add_f32 v97, v97, v187 :: v_dual_add_f32 v88, v104, v88
	v_add_f32_e32 v104, v135, v176
	v_dual_add_f32 v85, v85, v164 :: v_dual_add_f32 v22, v48, v22
	v_add_f32_e32 v107, v115, v107
	v_sub_f32_e32 v115, v200, v126
	v_mul_f32_e32 v114, 0x3ee437d1, v114
	v_dual_add_f32 v108, v108, v20 :: v_dual_add_f32 v23, v23, v21
	s_delay_alu instid0(VALU_DEP_3)
	v_dual_sub_f32 v110, v188, v110 :: v_dual_add_f32 v107, v115, v107
	v_dual_sub_f32 v115, v207, v127 :: v_dual_sub_f32 v68, v144, v68
	v_dual_add_f32 v71, v97, v71 :: v_dual_add_f32 v88, v104, v88
	v_dual_add_f32 v95, v95, v197 :: v_dual_add_f32 v104, v136, v166
	v_add_f32_e32 v22, v50, v22
	v_sub_f32_e32 v102, v102, v147
	s_delay_alu instid0(VALU_DEP_3) | instskip(NEXT) | instid1(VALU_DEP_4)
	v_dual_add_f32 v100, v137, v100 :: v_dual_add_f32 v71, v95, v71
	v_dual_add_f32 v88, v104, v88 :: v_dual_sub_f32 v91, v186, v91
	v_dual_add_f32 v104, v115, v107 :: v_dual_add_f32 v95, v96, v205
	v_sub_f32_e32 v107, v177, v129
	v_add_f32_e32 v115, v122, v121
	v_add_f32_e32 v121, v124, v182
	;; [unrolled: 1-line block ×5, first 2 shown]
	v_dual_add_f32 v88, v100, v88 :: v_dual_add_f32 v71, v95, v71
	v_add_f32_e32 v98, v107, v104
	v_dual_sub_f32 v100, v169, v132 :: v_dual_add_f32 v95, v99, v178
	v_add_f32_e32 v104, v121, v115
	v_dual_add_f32 v115, v141, v159 :: v_dual_add_f32 v68, v91, v68
	v_sub_f32_e32 v91, v196, v92
	v_add_f32_e32 v44, v46, v44
	v_dual_sub_f32 v114, v114, v167 :: v_dual_sub_f32 v121, v192, v130
	v_add_f32_e32 v107, v125, v172
	s_delay_alu instid0(VALU_DEP_4)
	v_dual_add_f32 v68, v91, v68 :: v_dual_sub_f32 v91, v204, v93
	v_add_f32_e32 v100, v100, v98
	v_dual_add_f32 v98, v115, v88 :: v_dual_add_f32 v23, v49, v23
	v_add_f32_e32 v40, v40, v44
	v_dual_sub_f32 v93, v168, v113 :: v_dual_add_f32 v104, v107, v104
	v_add_f32_e32 v107, v119, v193
	v_add_f32_e32 v71, v95, v71
	v_add_f32_e32 v95, v101, v165
	v_dual_add_f32 v88, v121, v100 :: v_dual_add_f32 v23, v51, v23
	v_add_f32_e32 v40, v42, v40
	s_delay_alu instid0(VALU_DEP_3) | instskip(SKIP_1) | instid1(VALU_DEP_3)
	v_dual_sub_f32 v48, v209, v82 :: v_dual_add_f32 v71, v95, v71
	v_sub_f32_e32 v50, v185, v83
	v_dual_add_f32 v23, v45, v23 :: v_dual_add_f32 v36, v36, v40
	v_add_f32_e32 v40, v70, v195
	v_dual_add_f32 v68, v91, v68 :: v_dual_sub_f32 v91, v194, v94
	v_dual_add_f32 v100, v107, v104 :: v_dual_add_f32 v49, v85, v71
	v_dual_add_f32 v104, v120, v154 :: v_dual_add_f32 v107, v110, v108
	v_sub_f32_e32 v110, v155, v133
	v_dual_add_f32 v23, v47, v23 :: v_dual_sub_f32 v108, v198, v117
	s_delay_alu instid0(VALU_DEP_3) | instskip(NEXT) | instid1(VALU_DEP_2)
	v_dual_add_f32 v71, v89, v106 :: v_dual_add_f32 v100, v104, v100
	v_dual_add_f32 v104, v118, v105 :: v_dual_add_f32 v23, v41, v23
	s_delay_alu instid0(VALU_DEP_3) | instskip(SKIP_2) | instid1(VALU_DEP_4)
	v_add_f32_e32 v105, v108, v107
	v_sub_f32_e32 v107, v206, v116
	v_add_f32_e32 v68, v91, v68
	v_dual_add_f32 v36, v38, v36 :: v_dual_add_f32 v23, v43, v23
	v_dual_add_f32 v100, v104, v100 :: v_dual_add_f32 v41, v59, v81
	v_sub_f32_e32 v96, v163, v112
	s_delay_alu instid0(VALU_DEP_3) | instskip(SKIP_3) | instid1(VALU_DEP_4)
	v_dual_add_f32 v28, v28, v36 :: v_dual_add_f32 v23, v37, v23
	v_sub_f32_e32 v37, v86, v60
	v_add_f32_e32 v48, v48, v68
	v_add_f32_e32 v104, v107, v105
	v_dual_sub_f32 v105, v181, v109 :: v_dual_add_f32 v28, v30, v28
	v_sub_f32_e32 v47, v134, v56
	s_delay_alu instid0(VALU_DEP_4) | instskip(SKIP_1) | instid1(VALU_DEP_4)
	v_add_f32_e32 v45, v50, v48
	v_add_f32_e32 v23, v39, v23
	v_dual_add_f32 v97, v105, v104 :: v_dual_sub_f32 v104, v183, v111
	v_add_f32_e32 v24, v24, v28
	v_add_f32_e32 v28, v77, v170
	s_delay_alu instid0(VALU_DEP_4) | instskip(NEXT) | instid1(VALU_DEP_4)
	v_dual_add_f32 v23, v29, v23 :: v_dual_sub_f32 v44, v80, v58
	v_dual_add_f32 v92, v104, v97 :: v_dual_add_f32 v97, v110, v88
	v_add_f32_e32 v48, v57, v143
	s_delay_alu instid0(VALU_DEP_3)
	v_add_f32_e32 v23, v31, v23
	v_add_f32_e32 v22, v71, v49
	v_sub_f32_e32 v36, v179, v72
	v_add_f32_e32 v29, v73, v184
	v_add_f32_e32 v21, v48, v21
	;; [unrolled: 1-line block ×3, first 2 shown]
	v_sub_f32_e32 v25, v174, v74
	v_add_f32_e32 v24, v26, v24
	s_delay_alu instid0(VALU_DEP_4) | instskip(SKIP_3) | instid1(VALU_DEP_3)
	v_dual_add_f32 v26, v79, v180 :: v_dual_add_f32 v21, v41, v21
	v_dual_add_f32 v41, v67, v90 :: v_dual_add_f32 v92, v96, v92
	v_add_f32_e32 v23, v27, v23
	v_add_f32_e32 v20, v47, v20
	v_dual_add_f32 v24, v32, v24 :: v_dual_add_f32 v21, v41, v21
	s_delay_alu instid0(VALU_DEP_4) | instskip(NEXT) | instid1(VALU_DEP_3)
	v_add_f32_e32 v99, v93, v92
	v_dual_add_f32 v23, v33, v23 :: v_dual_add_f32 v20, v44, v20
	s_delay_alu instid0(VALU_DEP_1) | instskip(NEXT) | instid1(VALU_DEP_2)
	v_dual_add_f32 v86, v114, v173 :: v_dual_add_f32 v27, v35, v23
	v_dual_add_f32 v20, v37, v20 :: v_dual_sub_f32 v37, v203, v69
	s_delay_alu instid0(VALU_DEP_2) | instskip(NEXT) | instid1(VALU_DEP_2)
	v_add_f32_e32 v13, v13, v27
	v_add_f32_e32 v20, v37, v20
	s_delay_alu instid0(VALU_DEP_1) | instskip(NEXT) | instid1(VALU_DEP_1)
	v_add_f32_e32 v20, v36, v20
	v_add_f32_e32 v20, v25, v20
	v_sub_f32_e32 v25, v161, v76
	s_delay_alu instid0(VALU_DEP_1) | instskip(NEXT) | instid1(VALU_DEP_1)
	v_dual_add_f32 v20, v25, v20 :: v_dual_sub_f32 v25, v158, v78
	v_add_f32_e32 v23, v25, v20
	v_add_f32_e32 v21, v40, v21
	s_delay_alu instid0(VALU_DEP_1) | instskip(SKIP_1) | instid1(VALU_DEP_1)
	v_add_f32_e32 v21, v29, v21
	v_dual_add_f32 v29, v75, v175 :: v_dual_sub_f32 v46, v202, v84
	v_add_f32_e32 v21, v29, v21
	v_and_b32_e32 v29, 0xffff, v66
	s_delay_alu instid0(VALU_DEP_2) | instskip(NEXT) | instid1(VALU_DEP_2)
	v_dual_add_f32 v21, v28, v21 :: v_dual_add_f32 v28, v34, v24
	v_add_lshl_u32 v20, v55, v29, 3
	s_delay_alu instid0(VALU_DEP_2) | instskip(NEXT) | instid1(VALU_DEP_3)
	v_add_f32_e32 v24, v26, v21
	v_dual_add_f32 v12, v12, v28 :: v_dual_add_f32 v21, v46, v45
	ds_store_2addr_b64 v20, v[12:13], v[23:24] offset1:1
	ds_store_2addr_b64 v20, v[21:22], v[99:100] offset0:2 offset1:3
	ds_store_2addr_b64 v20, v[97:98], v[102:103] offset0:4 offset1:5
	;; [unrolled: 1-line block ×7, first 2 shown]
	ds_store_b64 v20, v[53:54] offset:128
.LBB0_7:
	s_wait_alu 0xfffe
	s_or_b32 exec_lo, exec_lo, s0
	v_mul_u32_u24_e32 v12, 6, v64
	s_load_b128 s[0:3], s[2:3], 0x0
	global_wb scope:SCOPE_SE
	s_wait_dscnt 0x0
	s_wait_kmcnt 0x0
	s_barrier_signal -1
	s_barrier_wait -1
	v_lshlrev_b32_e32 v12, 3, v12
	global_inv scope:SCOPE_SE
	v_add_lshl_u32 v68, v55, v64, 3
	v_lshl_add_u32 v67, v64, 3, v65
	s_clause 0x2
	global_load_b128 v[28:31], v12, s[4:5]
	global_load_b128 v[24:27], v12, s[4:5] offset:16
	global_load_b128 v[20:23], v12, s[4:5] offset:32
	ds_load_2addr_b64 v[32:35], v68 offset1:17
	ds_load_2addr_b64 v[36:39], v68 offset0:34 offset1:51
	ds_load_2addr_b64 v[40:43], v68 offset0:68 offset1:85
	ds_load_b64 v[12:13], v68 offset:816
	s_wait_loadcnt_dscnt 0x203
	v_mul_f32_e32 v45, v34, v29
	s_wait_dscnt 0x2
	v_dual_mul_f32 v44, v35, v29 :: v_dual_mul_f32 v47, v36, v31
	s_wait_loadcnt 0x1
	v_dual_mul_f32 v46, v37, v31 :: v_dual_mul_f32 v49, v38, v25
	s_wait_loadcnt_dscnt 0x1
	v_dual_mul_f32 v50, v41, v27 :: v_dual_mul_f32 v55, v43, v21
	s_wait_dscnt 0x0
	v_dual_mul_f32 v56, v42, v21 :: v_dual_mul_f32 v57, v13, v23
	v_dual_mul_f32 v58, v12, v23 :: v_dual_fmac_f32 v45, v35, v28
	v_dual_mul_f32 v48, v39, v25 :: v_dual_mul_f32 v51, v40, v27
	v_fma_f32 v34, v34, v28, -v44
	v_fma_f32 v35, v36, v30, -v46
	v_dual_fmac_f32 v47, v37, v30 :: v_dual_fmac_f32 v56, v43, v20
	v_dual_fmac_f32 v49, v39, v24 :: v_dual_fmac_f32 v58, v13, v22
	v_fma_f32 v12, v12, v22, -v57
	v_fma_f32 v13, v42, v20, -v55
	;; [unrolled: 1-line block ×4, first 2 shown]
	s_delay_alu instid0(VALU_DEP_4) | instskip(SKIP_2) | instid1(VALU_DEP_3)
	v_dual_fmac_f32 v51, v41, v26 :: v_dual_add_f32 v38, v34, v12
	v_dual_add_f32 v39, v45, v58 :: v_dual_sub_f32 v12, v34, v12
	v_dual_sub_f32 v34, v45, v58 :: v_dual_add_f32 v41, v47, v56
	v_dual_add_f32 v40, v35, v13 :: v_dual_add_f32 v43, v49, v51
	v_sub_f32_e32 v13, v35, v13
	v_dual_sub_f32 v35, v47, v56 :: v_dual_add_f32 v42, v36, v37
	v_dual_sub_f32 v36, v37, v36 :: v_dual_sub_f32 v37, v51, v49
	s_delay_alu instid0(VALU_DEP_4) | instskip(SKIP_1) | instid1(VALU_DEP_4)
	v_dual_add_f32 v44, v40, v38 :: v_dual_add_f32 v45, v41, v39
	v_dual_sub_f32 v46, v40, v38 :: v_dual_sub_f32 v47, v41, v39
	v_dual_sub_f32 v38, v38, v42 :: v_dual_sub_f32 v39, v39, v43
	;; [unrolled: 1-line block ×3, first 2 shown]
	v_dual_add_f32 v48, v36, v13 :: v_dual_add_f32 v49, v37, v35
	v_dual_sub_f32 v50, v36, v13 :: v_dual_sub_f32 v51, v37, v35
	s_delay_alu instid0(VALU_DEP_4) | instskip(SKIP_4) | instid1(VALU_DEP_4)
	v_dual_sub_f32 v13, v13, v12 :: v_dual_mul_f32 v38, 0x3f4a47b2, v38
	v_dual_sub_f32 v35, v35, v34 :: v_dual_add_f32 v42, v42, v44
	v_dual_add_f32 v43, v43, v45 :: v_dual_sub_f32 v36, v12, v36
	v_dual_sub_f32 v37, v34, v37 :: v_dual_add_f32 v12, v48, v12
	v_dual_add_f32 v34, v49, v34 :: v_dual_mul_f32 v39, 0x3f4a47b2, v39
	v_add_f32_e32 v32, v32, v42
	v_dual_mul_f32 v44, 0x3d64c772, v40 :: v_dual_mul_f32 v45, 0x3d64c772, v41
	v_dual_mul_f32 v48, 0xbf08b237, v50 :: v_dual_mul_f32 v49, 0xbf08b237, v51
	;; [unrolled: 1-line block ×3, first 2 shown]
	v_dual_add_f32 v33, v33, v43 :: v_dual_fmamk_f32 v40, v40, 0x3d64c772, v38
	s_delay_alu instid0(VALU_DEP_4)
	v_fma_f32 v44, 0x3f3bfb3b, v46, -v44
	v_fma_f32 v45, 0x3f3bfb3b, v47, -v45
	;; [unrolled: 1-line block ×3, first 2 shown]
	v_fmamk_f32 v46, v36, 0x3eae86e6, v48
	v_fma_f32 v13, 0x3f5ff5aa, v13, -v48
	v_fma_f32 v48, 0x3f5ff5aa, v35, -v49
	v_fmamk_f32 v35, v42, 0xbf955555, v32
	v_fmamk_f32 v41, v41, 0x3d64c772, v39
	v_fma_f32 v39, 0xbf3bfb3b, v47, -v39
	v_fmamk_f32 v47, v37, 0x3eae86e6, v49
	v_fma_f32 v49, 0xbeae86e6, v36, -v50
	v_fma_f32 v50, 0xbeae86e6, v37, -v51
	v_fmamk_f32 v36, v43, 0xbf955555, v33
	s_delay_alu instid0(VALU_DEP_4) | instskip(SKIP_1) | instid1(VALU_DEP_4)
	v_dual_fmac_f32 v46, 0x3ee1c552, v12 :: v_dual_fmac_f32 v47, 0x3ee1c552, v34
	v_dual_fmac_f32 v13, 0x3ee1c552, v12 :: v_dual_fmac_f32 v48, 0x3ee1c552, v34
	;; [unrolled: 1-line block ×3, first 2 shown]
	s_delay_alu instid0(VALU_DEP_4) | instskip(SKIP_3) | instid1(VALU_DEP_3)
	v_dual_add_f32 v12, v40, v35 :: v_dual_add_f32 v51, v41, v36
	v_add_f32_e32 v40, v44, v35
	v_dual_add_f32 v42, v38, v35 :: v_dual_add_f32 v43, v39, v36
	v_add_f32_e32 v41, v45, v36
	v_dual_sub_f32 v35, v51, v46 :: v_dual_sub_f32 v38, v40, v48
	s_delay_alu instid0(VALU_DEP_3) | instskip(NEXT) | instid1(VALU_DEP_3)
	v_add_f32_e32 v36, v50, v42
	v_dual_add_f32 v34, v47, v12 :: v_dual_add_f32 v39, v13, v41
	v_dual_sub_f32 v37, v43, v49 :: v_dual_add_f32 v40, v48, v40
	v_dual_sub_f32 v41, v41, v13 :: v_dual_sub_f32 v42, v42, v50
	v_add_f32_e32 v43, v49, v43
	v_sub_f32_e32 v12, v12, v47
	v_add_f32_e32 v13, v46, v51
	ds_store_2addr_b64 v67, v[32:33], v[34:35] offset1:17
	ds_store_2addr_b64 v67, v[36:37], v[38:39] offset0:34 offset1:51
	ds_store_2addr_b64 v67, v[40:41], v[42:43] offset0:68 offset1:85
	ds_store_b64 v67, v[12:13] offset:816
	global_wb scope:SCOPE_SE
	s_wait_dscnt 0x0
	s_barrier_signal -1
	s_barrier_wait -1
	global_inv scope:SCOPE_SE
	s_and_saveexec_b32 s6, vcc_lo
	s_cbranch_execz .LBB0_9
; %bb.8:
	s_add_nc_u64 s[4:5], s[8:9], 0x3b8
	s_clause 0x10
	global_load_b64 v[59:60], v62, s[8:9] offset:952
	global_load_b64 v[89:90], v62, s[4:5] offset:56
	;; [unrolled: 1-line block ×17, first 2 shown]
	ds_load_2addr_b64 v[44:47], v67 offset1:7
	ds_load_2addr_b64 v[48:51], v67 offset0:14 offset1:21
	ds_load_2addr_b64 v[55:58], v67 offset0:28 offset1:35
	;; [unrolled: 1-line block ×7, first 2 shown]
	ds_load_b64 v[121:122], v67 offset:896
	s_wait_loadcnt_dscnt 0x1008
	v_mul_f32_e32 v123, v45, v60
	s_wait_loadcnt 0xf
	v_dual_mul_f32 v124, v44, v60 :: v_dual_mul_f32 v125, v47, v90
	v_mul_f32_e32 v60, v46, v90
	s_wait_loadcnt_dscnt 0xd07
	v_dual_mul_f32 v126, v49, v92 :: v_dual_mul_f32 v127, v51, v94
	s_wait_loadcnt_dscnt 0xb06
	v_dual_mul_f32 v90, v48, v92 :: v_dual_mul_f32 v129, v58, v98
	v_mul_f32_e32 v92, v50, v94
	v_mul_f32_e32 v128, v56, v96
	s_wait_loadcnt_dscnt 0x905
	v_dual_mul_f32 v94, v55, v96 :: v_dual_mul_f32 v131, v72, v102
	v_mul_f32_e32 v96, v57, v98
	s_wait_loadcnt_dscnt 0x704
	v_dual_mul_f32 v130, v70, v100 :: v_dual_mul_f32 v133, v76, v106
	s_wait_loadcnt_dscnt 0x503
	v_dual_mul_f32 v98, v69, v100 :: v_dual_mul_f32 v135, v80, v110
	v_mul_f32_e32 v100, v71, v102
	s_wait_loadcnt_dscnt 0x302
	v_dual_mul_f32 v132, v74, v104 :: v_dual_mul_f32 v137, v84, v114
	s_wait_loadcnt_dscnt 0x101
	v_dual_mul_f32 v102, v73, v104 :: v_dual_mul_f32 v139, v88, v118
	v_mul_f32_e32 v104, v75, v106
	v_mul_f32_e32 v134, v78, v108
	;; [unrolled: 1-line block ×10, first 2 shown]
	s_wait_loadcnt_dscnt 0x0
	v_mul_f32_e32 v140, v122, v120
	v_mul_f32_e32 v118, v121, v120
	v_fma_f32 v123, v44, v59, -v123
	v_fmac_f32_e32 v124, v45, v59
	v_fma_f32 v59, v46, v89, -v125
	v_fmac_f32_e32 v60, v47, v89
	;; [unrolled: 2-line block ×17, first 2 shown]
	ds_store_2addr_b64 v67, v[123:124], v[59:60] offset1:7
	ds_store_2addr_b64 v67, v[89:90], v[91:92] offset0:14 offset1:21
	ds_store_2addr_b64 v67, v[93:94], v[95:96] offset0:28 offset1:35
	ds_store_2addr_b64 v67, v[97:98], v[99:100] offset0:42 offset1:49
	ds_store_2addr_b64 v67, v[101:102], v[103:104] offset0:56 offset1:63
	ds_store_2addr_b64 v67, v[105:106], v[107:108] offset0:70 offset1:77
	ds_store_2addr_b64 v67, v[109:110], v[111:112] offset0:84 offset1:91
	ds_store_2addr_b64 v67, v[113:114], v[115:116] offset0:98 offset1:105
	ds_store_b64 v67, v[117:118] offset:896
.LBB0_9:
	s_wait_alu 0xfffe
	s_or_b32 exec_lo, exec_lo, s6
	global_wb scope:SCOPE_SE
	s_wait_dscnt 0x0
	s_barrier_signal -1
	s_barrier_wait -1
	global_inv scope:SCOPE_SE
	s_and_saveexec_b32 s4, vcc_lo
	s_cbranch_execz .LBB0_11
; %bb.10:
	ds_load_2addr_b64 v[32:35], v67 offset1:7
	ds_load_2addr_b64 v[36:39], v67 offset0:14 offset1:21
	ds_load_2addr_b64 v[40:43], v67 offset0:28 offset1:35
	;; [unrolled: 1-line block ×7, first 2 shown]
	ds_load_b64 v[53:54], v67 offset:896
.LBB0_11:
	s_wait_alu 0xfffe
	s_or_b32 exec_lo, exec_lo, s4
	global_wb scope:SCOPE_SE
	s_wait_dscnt 0x0
	s_barrier_signal -1
	s_barrier_wait -1
	global_inv scope:SCOPE_SE
	s_and_saveexec_b32 s4, vcc_lo
	s_cbranch_execz .LBB0_13
; %bb.12:
	v_dual_add_f32 v60, v54, v35 :: v_dual_add_f32 v181, v7, v41
	v_dual_sub_f32 v74, v34, v53 :: v_dual_sub_f32 v69, v40, v6
	v_dual_add_f32 v188, v3, v37 :: v_dual_sub_f32 v71, v38, v0
	s_delay_alu instid0(VALU_DEP_3) | instskip(SKIP_1) | instid1(VALU_DEP_3)
	v_dual_mul_f32 v88, 0xbf7ba420, v60 :: v_dual_sub_f32 v73, v12, v10
	v_dual_sub_f32 v70, v36, v2 :: v_dual_add_f32 v59, v11, v13
	v_dual_mul_f32 v90, 0x3f6eb680, v188 :: v_dual_sub_f32 v149, v37, v3
	v_add_f32_e32 v186, v1, v39
	s_delay_alu instid0(VALU_DEP_4) | instskip(SKIP_1) | instid1(VALU_DEP_4)
	v_dual_fmamk_f32 v44, v74, 0x3e3c28d5, v88 :: v_dual_add_f32 v171, v9, v15
	v_dual_mul_f32 v92, 0x3f3d2fb0, v181 :: v_dual_add_f32 v77, v2, v36
	v_dual_sub_f32 v148, v35, v54 :: v_dual_fmamk_f32 v45, v70, 0xbeb8f4ab, v90
	s_delay_alu instid0(VALU_DEP_4) | instskip(NEXT) | instid1(VALU_DEP_4)
	v_dual_add_f32 v182, v5, v43 :: v_dual_mul_f32 v91, 0xbf59a7d5, v186
	v_dual_add_f32 v44, v33, v44 :: v_dual_mul_f32 v95, 0x3eb8f4ab, v149
	v_dual_add_f32 v76, v53, v34 :: v_dual_sub_f32 v161, v39, v1
	s_delay_alu instid0(VALU_DEP_4) | instskip(NEXT) | instid1(VALU_DEP_3)
	v_mul_f32_e32 v96, 0xbe3c28d5, v148
	v_add_f32_e32 v44, v45, v44
	v_dual_sub_f32 v72, v42, v4 :: v_dual_mul_f32 v97, 0xbf1a4643, v182
	v_fmamk_f32 v45, v69, 0xbf2c7751, v92
	s_delay_alu instid0(VALU_DEP_4) | instskip(SKIP_3) | instid1(VALU_DEP_3)
	v_fmamk_f32 v47, v76, 0xbf7ba420, v96
	v_fmamk_f32 v46, v71, 0x3f06c442, v91
	v_dual_mul_f32 v94, 0x3ee437d1, v59 :: v_dual_add_f32 v79, v0, v38
	v_mul_f32_e32 v89, 0xbf06c442, v161
	v_dual_add_f32 v47, v32, v47 :: v_dual_add_f32 v44, v46, v44
	v_dual_fmamk_f32 v46, v72, 0x3f4c4adb, v97 :: v_dual_sub_f32 v75, v14, v8
	v_mul_f32_e32 v93, 0xbe8c1d8e, v171
	s_delay_alu instid0(VALU_DEP_3) | instskip(SKIP_2) | instid1(VALU_DEP_3)
	v_dual_sub_f32 v169, v43, v5 :: v_dual_add_f32 v44, v45, v44
	v_fmamk_f32 v45, v73, 0xbf65296c, v94
	v_dual_add_f32 v81, v4, v42 :: v_dual_add_f32 v80, v6, v40
	v_dual_sub_f32 v165, v13, v11 :: v_dual_add_f32 v44, v46, v44
	v_fmamk_f32 v46, v77, 0x3f6eb680, v95
	v_add_f32_e32 v174, v19, v17
	s_delay_alu instid0(VALU_DEP_3) | instskip(NEXT) | instid1(VALU_DEP_3)
	v_dual_sub_f32 v78, v16, v18 :: v_dual_mul_f32 v87, 0x3f65296c, v165
	v_dual_add_f32 v44, v45, v44 :: v_dual_add_f32 v45, v46, v47
	v_fmamk_f32 v47, v75, 0x3f763a35, v93
	v_fmamk_f32 v46, v79, 0xbf59a7d5, v89
	v_sub_f32_e32 v168, v41, v7
	v_dual_mul_f32 v86, 0xbf4c4adb, v169 :: v_dual_sub_f32 v173, v17, v19
	v_mul_f32_e32 v121, 0xbf7ee86f, v161
	s_delay_alu instid0(VALU_DEP_4) | instskip(NEXT) | instid1(VALU_DEP_4)
	v_add_f32_e32 v45, v46, v45
	v_mul_f32_e32 v85, 0x3f2c7751, v168
	v_mul_f32_e32 v100, 0x3dbcf732, v174
	v_add_f32_e32 v44, v47, v44
	v_mul_f32_e32 v102, 0x3dbcf732, v186
	v_add_f32_e32 v82, v10, v12
	v_mul_f32_e32 v101, 0x3ee437d1, v188
	v_fmamk_f32 v47, v78, 0xbf7ee86f, v100
	v_fmamk_f32 v46, v80, 0x3f3d2fb0, v85
	v_sub_f32_e32 v172, v15, v9
	v_fmamk_f32 v48, v82, 0x3ee437d1, v87
	v_dual_add_f32 v84, v8, v14 :: v_dual_mul_f32 v99, 0x3f7ee86f, v173
	s_delay_alu instid0(VALU_DEP_4) | instskip(SKIP_3) | instid1(VALU_DEP_4)
	v_dual_add_f32 v45, v46, v45 :: v_dual_fmamk_f32 v46, v81, 0xbf1a4643, v86
	v_add_f32_e32 v83, v18, v16
	v_mul_f32_e32 v115, 0xbf59a7d5, v60
	v_mul_f32_e32 v119, 0xbf06c442, v148
	v_dual_mul_f32 v109, 0xbe8c1d8e, v174 :: v_dual_add_f32 v46, v46, v45
	v_add_f32_e32 v45, v47, v44
	v_fmamk_f32 v47, v70, 0xbf65296c, v101
	v_mul_f32_e32 v98, 0xbf763a35, v172
	s_delay_alu instid0(VALU_DEP_4) | instskip(SKIP_2) | instid1(VALU_DEP_4)
	v_dual_fmamk_f32 v49, v74, 0x3f06c442, v115 :: v_dual_add_f32 v44, v48, v46
	v_mul_f32_e32 v105, 0x3dbcf732, v182
	v_mul_f32_e32 v118, 0xbf65296c, v168
	v_fmamk_f32 v48, v84, 0xbe8c1d8e, v98
	v_mul_f32_e32 v113, 0xbf7ba420, v59
	v_mul_f32_e32 v154, 0x3ee437d1, v181
	v_fmamk_f32 v51, v72, 0xbf7ee86f, v105
	v_fmamk_f32 v57, v80, 0x3ee437d1, v118
	v_add_f32_e32 v44, v48, v44
	v_fmamk_f32 v48, v83, 0x3dbcf732, v99
	v_mul_f32_e32 v120, 0x3f65296c, v149
	v_dual_add_f32 v46, v33, v49 :: v_dual_mul_f32 v107, 0x3f6eb680, v182
	v_dual_mul_f32 v106, 0xbf1a4643, v181 :: v_dual_mul_f32 v117, 0xbf1a4643, v60
	s_delay_alu instid0(VALU_DEP_4) | instskip(SKIP_1) | instid1(VALU_DEP_4)
	v_add_f32_e32 v44, v48, v44
	v_fmamk_f32 v48, v76, 0xbf59a7d5, v119
	v_dual_fmamk_f32 v49, v77, 0x3ee437d1, v120 :: v_dual_add_f32 v46, v47, v46
	v_mul_f32_e32 v124, 0x3f4c4adb, v168
	v_mul_f32_e32 v140, 0xbeb8f4ab, v169
	s_delay_alu instid0(VALU_DEP_4) | instskip(SKIP_3) | instid1(VALU_DEP_4)
	v_dual_add_f32 v48, v32, v48 :: v_dual_mul_f32 v141, 0xbe3c28d5, v165
	v_mul_f32_e32 v103, 0x3f6eb680, v186
	v_mul_f32_e32 v129, 0x3f2c7751, v172
	;; [unrolled: 1-line block ×3, first 2 shown]
	v_dual_add_f32 v48, v49, v48 :: v_dual_fmamk_f32 v49, v79, 0x3dbcf732, v121
	v_fmamk_f32 v47, v71, 0x3f7ee86f, v102
	v_mul_f32_e32 v166, 0xbf59a7d5, v59
	v_mul_f32_e32 v158, 0x3f06c442, v149
	;; [unrolled: 1-line block ×3, first 2 shown]
	v_add_f32_e32 v48, v49, v48
	v_dual_add_f32 v46, v47, v46 :: v_dual_fmamk_f32 v47, v69, 0xbf4c4adb, v106
	v_fmamk_f32 v49, v80, 0xbf1a4643, v124
	v_mul_f32_e32 v114, 0xbe8c1d8e, v188
	v_mul_f32_e32 v131, 0xbf4c4adb, v148
	v_fmamk_f32 v56, v77, 0xbf59a7d5, v158
	v_dual_add_f32 v46, v47, v46 :: v_dual_fmamk_f32 v47, v72, 0x3eb8f4ab, v107
	v_add_f32_e32 v48, v49, v48
	v_fmamk_f32 v49, v81, 0x3f6eb680, v140
	v_mul_f32_e32 v133, 0x3f763a35, v149
	s_delay_alu instid0(VALU_DEP_4) | instskip(SKIP_1) | instid1(VALU_DEP_4)
	v_dual_mul_f32 v123, 0xbf06c442, v168 :: v_dual_add_f32 v46, v47, v46
	v_fmamk_f32 v47, v73, 0x3e3c28d5, v113
	v_dual_add_f32 v48, v49, v48 :: v_dual_fmamk_f32 v49, v82, 0xbf7ba420, v141
	v_mul_f32_e32 v104, 0xbf59a7d5, v181
	v_mul_f32_e32 v110, 0x3f3d2fb0, v59
	s_delay_alu instid0(VALU_DEP_4) | instskip(NEXT) | instid1(VALU_DEP_4)
	v_dual_add_f32 v46, v47, v46 :: v_dual_mul_f32 v111, 0xbf7ba420, v171
	v_dual_add_f32 v48, v49, v48 :: v_dual_fmamk_f32 v49, v84, 0x3f3d2fb0, v129
	v_fmamk_f32 v47, v75, 0xbf2c7751, v108
	v_mul_f32_e32 v125, 0x3f65296c, v173
	v_mul_f32_e32 v112, 0x3ee437d1, v174
	;; [unrolled: 1-line block ×3, first 2 shown]
	v_add_f32_e32 v48, v49, v48
	v_dual_add_f32 v46, v47, v46 :: v_dual_fmamk_f32 v47, v78, 0x3f763a35, v109
	v_fmamk_f32 v49, v83, 0xbe8c1d8e, v116
	v_fmamk_f32 v50, v70, 0xbf763a35, v114
	v_mul_f32_e32 v139, 0x3f2c7751, v161
	s_delay_alu instid0(VALU_DEP_4) | instskip(SKIP_4) | instid1(VALU_DEP_4)
	v_dual_mul_f32 v152, 0xbf59a7d5, v188 :: v_dual_add_f32 v47, v47, v46
	v_fmamk_f32 v46, v74, 0x3f4c4adb, v117
	v_mul_f32_e32 v130, 0xbeb8f4ab, v172
	v_mul_f32_e32 v147, 0x3f6eb680, v181
	v_mul_f32_e32 v122, 0xbeb8f4ab, v161
	v_dual_fmamk_f32 v55, v70, 0xbf06c442, v152 :: v_dual_add_f32 v46, v33, v46
	v_mul_f32_e32 v151, 0xbe8c1d8e, v60
	v_mul_f32_e32 v134, 0x3f7ee86f, v169
	v_dual_mul_f32 v136, 0xbe3c28d5, v172 :: v_dual_mul_f32 v127, 0xbe3c28d5, v169
	s_delay_alu instid0(VALU_DEP_4)
	v_add_f32_e32 v46, v50, v46
	v_fmamk_f32 v50, v71, 0x3eb8f4ab, v103
	v_mul_f32_e32 v150, 0x3ee437d1, v182
	v_mul_f32_e32 v143, 0xbe8c1d8e, v186
	;; [unrolled: 1-line block ×3, first 2 shown]
	v_dual_mul_f32 v138, 0xbf1a4643, v174 :: v_dual_mul_f32 v159, 0xbf1a4643, v171
	v_add_f32_e32 v46, v50, v46
	v_fmamk_f32 v50, v69, 0x3f06c442, v104
	v_fmamk_f32 v58, v72, 0x3f65296c, v150
	v_mul_f32_e32 v135, 0xbf2c7751, v165
	v_mul_f32_e32 v185, 0x3f763a35, v168
	s_delay_alu instid0(VALU_DEP_4) | instskip(SKIP_2) | instid1(VALU_DEP_4)
	v_dual_mul_f32 v179, 0xbf7ee86f, v148 :: v_dual_add_f32 v50, v50, v46
	v_dual_add_f32 v46, v49, v48 :: v_dual_mul_f32 v153, 0x3f3d2fb0, v186
	v_mul_f32_e32 v170, 0x3dbcf732, v60
	v_dual_fmamk_f32 v177, v80, 0xbe8c1d8e, v185 :: v_dual_mul_f32 v210, 0xbe8c1d8e, v59
	s_delay_alu instid0(VALU_DEP_4) | instskip(SKIP_3) | instid1(VALU_DEP_4)
	v_dual_add_f32 v49, v51, v50 :: v_dual_fmamk_f32 v50, v73, 0x3f2c7751, v110
	v_fmamk_f32 v51, v77, 0xbe8c1d8e, v133
	v_mul_f32_e32 v193, 0xbf4c4adb, v149
	v_mul_f32_e32 v128, 0x3f7ee86f, v165
	v_dual_mul_f32 v206, 0xbf1a4643, v186 :: v_dual_add_f32 v49, v50, v49
	v_fmamk_f32 v50, v75, 0x3e3c28d5, v111
	s_delay_alu instid0(VALU_DEP_4)
	v_fmamk_f32 v176, v77, 0xbf1a4643, v193
	v_mul_f32_e32 v191, 0x3f4c4adb, v172
	v_mul_f32_e32 v167, 0xbf1a4643, v188
	;; [unrolled: 1-line block ×3, first 2 shown]
	v_add_f32_e32 v49, v50, v49
	v_fmamk_f32 v50, v78, 0xbf65296c, v112
	v_fmamk_f32 v48, v76, 0xbf1a4643, v131
	;; [unrolled: 1-line block ×3, first 2 shown]
	v_mul_f32_e32 v160, 0x3f3d2fb0, v174
	s_delay_alu instid0(VALU_DEP_4) | instskip(NEXT) | instid1(VALU_DEP_4)
	v_dual_mul_f32 v178, 0x3ee437d1, v60 :: v_dual_add_f32 v49, v50, v49
	v_add_f32_e32 v48, v32, v48
	v_fmamk_f32 v50, v74, 0x3f763a35, v151
	v_dual_mul_f32 v144, 0xbf7ba420, v186 :: v_dual_mul_f32 v207, 0xbf7ba420, v181
	v_mul_f32_e32 v146, 0x3f3d2fb0, v182
	s_delay_alu instid0(VALU_DEP_4) | instskip(NEXT) | instid1(VALU_DEP_4)
	v_add_f32_e32 v48, v51, v48
	v_dual_fmamk_f32 v51, v79, 0x3f6eb680, v122 :: v_dual_add_f32 v50, v33, v50
	v_mul_f32_e32 v162, 0x3f6eb680, v59
	v_mul_f32_e32 v180, 0xbe3c28d5, v149
	;; [unrolled: 1-line block ×3, first 2 shown]
	s_delay_alu instid0(VALU_DEP_4)
	v_dual_add_f32 v48, v51, v48 :: v_dual_fmamk_f32 v51, v80, 0xbf59a7d5, v123
	v_mul_f32_e32 v208, 0xbf59a7d5, v182
	v_mul_f32_e32 v198, 0xbf65296c, v169
	;; [unrolled: 1-line block ×4, first 2 shown]
	v_dual_add_f32 v48, v51, v48 :: v_dual_fmamk_f32 v51, v81, 0x3dbcf732, v134
	v_fmamk_f32 v190, v72, 0xbf06c442, v208
	v_dual_mul_f32 v196, 0xbf7ee86f, v172 :: v_dual_mul_f32 v211, 0xbf7ee86f, v149
	s_delay_alu instid0(VALU_DEP_3)
	v_dual_mul_f32 v175, 0x3f2c7751, v173 :: v_dual_add_f32 v48, v51, v48
	v_add_f32_e32 v50, v55, v50
	v_fmamk_f32 v55, v71, 0xbf2c7751, v153
	v_fmamk_f32 v51, v82, 0x3f3d2fb0, v135
	v_mul_f32_e32 v163, 0x3dbcf732, v171
	v_fmamk_f32 v201, v77, 0x3dbcf732, v211
	v_mul_f32_e32 v192, 0xbf65296c, v148
	v_add_f32_e32 v50, v55, v50
	v_dual_add_f32 v48, v51, v48 :: v_dual_fmamk_f32 v51, v84, 0xbf7ba420, v136
	v_fmamk_f32 v55, v69, 0x3f65296c, v154
	v_mul_f32_e32 v184, 0x3e3c28d5, v161
	v_dual_mul_f32 v164, 0xbf59a7d5, v174 :: v_dual_add_f32 v35, v35, v33
	s_delay_alu instid0(VALU_DEP_4) | instskip(SKIP_4) | instid1(VALU_DEP_4)
	v_add_f32_e32 v48, v51, v48
	v_fmamk_f32 v51, v83, 0x3ee437d1, v125
	v_mul_f32_e32 v155, 0xbf7ba420, v182
	v_dual_mul_f32 v183, 0x3f763a35, v161 :: v_dual_add_f32 v34, v34, v32
	v_fmac_f32_e32 v92, 0x3f2c7751, v69
	v_add_f32_e32 v48, v51, v48
	s_delay_alu instid0(VALU_DEP_4) | instskip(SKIP_3) | instid1(VALU_DEP_3)
	v_dual_add_f32 v50, v55, v50 :: v_dual_fmamk_f32 v55, v72, 0x3e3c28d5, v155
	v_mul_f32_e32 v157, 0x3dbcf732, v59
	v_dual_fmac_f32 v88, 0xbe3c28d5, v74 :: v_dual_fmac_f32 v113, 0xbe3c28d5, v73
	v_fmac_f32_e32 v94, 0x3f65296c, v73
	v_dual_add_f32 v50, v55, v50 :: v_dual_fmamk_f32 v55, v73, 0xbf7ee86f, v157
	v_fmamk_f32 v51, v76, 0xbe8c1d8e, v156
	v_fmac_f32_e32 v154, 0xbf65296c, v69
	v_fmac_f32_e32 v100, 0x3f7ee86f, v78
	s_delay_alu instid0(VALU_DEP_4) | instskip(SKIP_4) | instid1(VALU_DEP_4)
	v_dual_mul_f32 v145, 0xbe8c1d8e, v181 :: v_dual_add_f32 v50, v55, v50
	v_mul_f32_e32 v137, 0x3f6eb680, v171
	v_add_f32_e32 v51, v32, v51
	v_mul_f32_e32 v209, 0xbf2c7751, v148
	v_dual_mul_f32 v148, 0xbeb8f4ab, v148 :: v_dual_add_f32 v37, v37, v35
	v_fmamk_f32 v55, v75, 0x3eb8f4ab, v137
	s_delay_alu instid0(VALU_DEP_4) | instskip(NEXT) | instid1(VALU_DEP_3)
	v_dual_add_f32 v51, v56, v51 :: v_dual_fmamk_f32 v56, v79, 0x3f3d2fb0, v139
	v_dual_mul_f32 v204, 0x3f3d2fb0, v60 :: v_dual_add_f32 v37, v39, v37
	s_delay_alu instid0(VALU_DEP_3) | instskip(NEXT) | instid1(VALU_DEP_3)
	v_dual_add_f32 v50, v55, v50 :: v_dual_fmamk_f32 v55, v78, 0x3f4c4adb, v138
	v_add_f32_e32 v56, v56, v51
	v_mul_f32_e32 v194, 0x3f2c7751, v169
	v_dual_mul_f32 v35, 0xbf1a4643, v59 :: v_dual_add_f32 v36, v36, v34
	s_delay_alu instid0(VALU_DEP_4) | instskip(NEXT) | instid1(VALU_DEP_4)
	v_dual_add_f32 v51, v55, v50 :: v_dual_fmamk_f32 v50, v74, 0x3f7ee86f, v170
	v_add_f32_e32 v55, v57, v56
	v_fmamk_f32 v56, v81, 0xbf7ba420, v127
	v_fmamk_f32 v57, v70, 0x3e3c28d5, v142
	v_add_f32_e32 v36, v38, v36
	v_add_f32_e32 v50, v33, v50
	v_mul_f32_e32 v34, 0xbf59a7d5, v171
	v_dual_add_f32 v55, v56, v55 :: v_dual_fmamk_f32 v56, v82, 0x3dbcf732, v128
	v_fmac_f32_e32 v138, 0xbf4c4adb, v78
	s_delay_alu instid0(VALU_DEP_4) | instskip(SKIP_1) | instid1(VALU_DEP_4)
	v_dual_add_f32 v50, v57, v50 :: v_dual_fmamk_f32 v57, v71, 0xbf763a35, v143
	v_mul_f32_e32 v197, 0x3ee437d1, v171
	v_add_f32_e32 v55, v56, v55
	v_dual_fmamk_f32 v56, v84, 0x3f6eb680, v130 :: v_dual_add_f32 v37, v41, v37
	s_delay_alu instid0(VALU_DEP_4) | instskip(SKIP_2) | instid1(VALU_DEP_4)
	v_add_f32_e32 v50, v57, v50
	v_fmamk_f32 v57, v69, 0xbeb8f4ab, v147
	v_fmamk_f32 v41, v76, 0x3f6eb680, v148
	v_dual_add_f32 v55, v56, v55 :: v_dual_fmamk_f32 v56, v83, 0xbf1a4643, v132
	s_delay_alu instid0(VALU_DEP_3) | instskip(SKIP_1) | instid1(VALU_DEP_3)
	v_dual_add_f32 v36, v40, v36 :: v_dual_add_f32 v57, v57, v50
	v_mul_f32_e32 v40, 0xbf2c7751, v149
	v_dual_add_f32 v37, v43, v37 :: v_dual_add_f32 v50, v56, v55
	s_delay_alu instid0(VALU_DEP_3) | instskip(NEXT) | instid1(VALU_DEP_4)
	v_dual_fmamk_f32 v55, v76, 0x3dbcf732, v179 :: v_dual_add_f32 v56, v58, v57
	v_dual_fmamk_f32 v57, v73, 0x3f06c442, v166 :: v_dual_add_f32 v36, v42, v36
	v_fmac_f32_e32 v91, 0xbf06c442, v71
	s_delay_alu instid0(VALU_DEP_3) | instskip(NEXT) | instid1(VALU_DEP_3)
	v_dual_add_f32 v55, v32, v55 :: v_dual_mul_f32 v42, 0xbf65296c, v161
	v_dual_add_f32 v56, v57, v56 :: v_dual_fmamk_f32 v57, v75, 0xbf4c4adb, v159
	v_fmac_f32_e32 v170, 0xbf7ee86f, v74
	v_fmac_f32_e32 v106, 0x3f4c4adb, v69
	;; [unrolled: 1-line block ×3, first 2 shown]
	v_add_f32_e32 v12, v12, v36
	v_dual_add_f32 v56, v57, v56 :: v_dual_fmamk_f32 v57, v78, 0xbf2c7751, v160
	v_add_f32_e32 v37, v13, v37
	s_delay_alu instid0(VALU_DEP_3) | instskip(NEXT) | instid1(VALU_DEP_3)
	v_dual_fmac_f32 v93, 0xbf763a35, v75 :: v_dual_add_f32 v12, v14, v12
	v_dual_fmac_f32 v117, 0xbf4c4adb, v74 :: v_dual_add_f32 v56, v57, v56
	v_fmamk_f32 v57, v74, 0x3f65296c, v178
	s_delay_alu instid0(VALU_DEP_4) | instskip(SKIP_2) | instid1(VALU_DEP_4)
	v_add_f32_e32 v15, v15, v37
	v_fmamk_f32 v37, v79, 0x3ee437d1, v42
	v_fmamk_f32 v202, v75, 0xbf65296c, v197
	v_dual_add_f32 v16, v16, v12 :: v_dual_add_f32 v57, v33, v57
	s_delay_alu instid0(VALU_DEP_4)
	v_add_f32_e32 v15, v17, v15
	v_fmac_f32_e32 v101, 0x3f65296c, v70
	v_fmamk_f32 v39, v73, 0x3f4c4adb, v35
	v_fmac_f32_e32 v109, 0xbf763a35, v78
	v_dual_add_f32 v57, v126, v57 :: v_dual_fmamk_f32 v126, v71, 0xbe3c28d5, v144
	v_dual_add_f32 v15, v19, v15 :: v_dual_fmac_f32 v90, 0x3eb8f4ab, v70
	v_fmac_f32_e32 v144, 0x3e3c28d5, v71
	v_mul_f32_e32 v13, 0xbf7ba420, v174
	s_delay_alu instid0(VALU_DEP_4) | instskip(NEXT) | instid1(VALU_DEP_4)
	v_dual_add_f32 v57, v126, v57 :: v_dual_fmamk_f32 v126, v69, 0xbf763a35, v145
	v_add_f32_e32 v9, v9, v15
	v_add_f32_e32 v15, v18, v16
	v_fmac_f32_e32 v151, 0xbf763a35, v74
	v_mul_f32_e32 v18, 0xbf4c4adb, v165
	v_dual_add_f32 v57, v126, v57 :: v_dual_fmamk_f32 v126, v72, 0xbf2c7751, v146
	s_delay_alu instid0(VALU_DEP_4) | instskip(SKIP_1) | instid1(VALU_DEP_4)
	v_dual_add_f32 v8, v8, v15 :: v_dual_add_f32 v9, v11, v9
	v_add_f32_e32 v11, v33, v88
	v_fmamk_f32 v15, v82, 0xbf1a4643, v18
	s_delay_alu instid0(VALU_DEP_4) | instskip(NEXT) | instid1(VALU_DEP_4)
	v_dual_add_f32 v57, v126, v57 :: v_dual_fmamk_f32 v126, v73, 0x3eb8f4ab, v162
	v_dual_add_f32 v8, v10, v8 :: v_dual_add_f32 v5, v5, v9
	s_delay_alu instid0(VALU_DEP_4) | instskip(NEXT) | instid1(VALU_DEP_3)
	v_dual_add_f32 v9, v90, v11 :: v_dual_mul_f32 v182, 0xbe8c1d8e, v182
	v_dual_add_f32 v57, v126, v57 :: v_dual_fmamk_f32 v126, v75, 0x3f7ee86f, v163
	s_delay_alu instid0(VALU_DEP_3) | instskip(NEXT) | instid1(VALU_DEP_4)
	v_dual_fmamk_f32 v58, v77, 0xbf7ba420, v180 :: v_dual_add_f32 v5, v7, v5
	v_add_f32_e32 v4, v4, v8
	v_fmac_f32_e32 v166, 0xbf06c442, v73
	s_delay_alu instid0(VALU_DEP_4) | instskip(NEXT) | instid1(VALU_DEP_4)
	v_add_f32_e32 v57, v126, v57
	v_dual_add_f32 v55, v58, v55 :: v_dual_fmamk_f32 v58, v79, 0xbe8c1d8e, v183
	v_fmamk_f32 v126, v78, 0x3f06c442, v164
	v_fmac_f32_e32 v164, 0xbf06c442, v78
	v_fmac_f32_e32 v114, 0x3f763a35, v70
	v_fma_f32 v18, 0xbf1a4643, v82, -v18
	v_dual_add_f32 v55, v58, v55 :: v_dual_fmamk_f32 v58, v80, 0x3f6eb680, v187
	v_add_f32_e32 v7, v91, v9
	v_dual_add_f32 v1, v1, v5 :: v_dual_add_f32 v4, v6, v4
	v_fmac_f32_e32 v153, 0x3f2c7751, v71
	s_delay_alu instid0(VALU_DEP_4) | instskip(NEXT) | instid1(VALU_DEP_3)
	v_dual_add_f32 v55, v58, v55 :: v_dual_fmamk_f32 v58, v81, 0x3ee437d1, v198
	v_add_f32_e32 v1, v3, v1
	v_add_f32_e32 v5, v92, v7
	;; [unrolled: 1-line block ×3, first 2 shown]
	v_fma_f32 v4, 0xbf7ba420, v76, -v96
	v_add_f32_e32 v55, v58, v55
	v_fmamk_f32 v58, v82, 0xbf59a7d5, v200
	v_fmac_f32_e32 v142, 0xbe3c28d5, v70
	v_mul_f32_e32 v19, 0xbf763a35, v169
	v_fmac_f32_e32 v97, 0xbf4c4adb, v72
	v_add_f32_e32 v1, v54, v1
	v_dual_add_f32 v55, v58, v55 :: v_dual_fmamk_f32 v58, v84, 0xbf1a4643, v191
	s_delay_alu instid0(VALU_DEP_4) | instskip(NEXT) | instid1(VALU_DEP_4)
	v_fmamk_f32 v16, v81, 0xbe8c1d8e, v19
	v_add_f32_e32 v3, v97, v5
	v_fma_f32 v5, 0xbf59a7d5, v79, -v89
	v_fma_f32 v19, 0xbe8c1d8e, v81, -v19
	v_dual_add_f32 v55, v58, v55 :: v_dual_fmamk_f32 v58, v83, 0x3f3d2fb0, v175
	v_fmac_f32_e32 v112, 0x3f65296c, v78
	v_fmac_f32_e32 v150, 0xbf65296c, v72
	;; [unrolled: 1-line block ×4, first 2 shown]
	v_dual_add_f32 v55, v58, v55 :: v_dual_fmamk_f32 v58, v76, 0x3ee437d1, v192
	v_fmac_f32_e32 v107, 0xbeb8f4ab, v72
	v_fmac_f32_e32 v103, 0xbeb8f4ab, v71
	v_fmac_f32_e32 v105, 0x3f7ee86f, v72
	s_delay_alu instid0(VALU_DEP_4) | instskip(SKIP_3) | instid1(VALU_DEP_4)
	v_dual_fmac_f32 v157, 0x3f7ee86f, v73 :: v_dual_add_f32 v58, v32, v58
	v_fmac_f32_e32 v102, 0xbf7ee86f, v71
	v_fmac_f32_e32 v137, 0xbeb8f4ab, v75
	;; [unrolled: 1-line block ×3, first 2 shown]
	v_dual_fmac_f32 v143, 0x3f763a35, v71 :: v_dual_add_f32 v58, v176, v58
	v_fmamk_f32 v176, v79, 0xbf7ba420, v184
	v_fmac_f32_e32 v145, 0x3f763a35, v69
	v_fmac_f32_e32 v159, 0x3f4c4adb, v75
	v_fmac_f32_e32 v167, 0xbf4c4adb, v70
	s_delay_alu instid0(VALU_DEP_4) | instskip(SKIP_3) | instid1(VALU_DEP_4)
	v_dual_fmac_f32 v163, 0xbf7ee86f, v75 :: v_dual_add_f32 v176, v176, v58
	v_add_f32_e32 v58, v126, v57
	v_fmamk_f32 v57, v74, 0x3f2c7751, v204
	v_fmac_f32_e32 v204, 0xbf2c7751, v74
	v_dual_fmac_f32 v197, 0x3f65296c, v75 :: v_dual_add_f32 v126, v177, v176
	v_fmamk_f32 v176, v81, 0x3f3d2fb0, v194
	v_mul_f32_e32 v205, 0x3dbcf732, v188
	v_add_f32_e32 v57, v33, v57
	v_fmac_f32_e32 v111, 0xbe3c28d5, v75
	s_delay_alu instid0(VALU_DEP_4) | instskip(SKIP_1) | instid1(VALU_DEP_1)
	v_dual_fmac_f32 v35, 0xbf4c4adb, v73 :: v_dual_add_f32 v126, v176, v126
	v_mul_f32_e32 v195, 0xbeb8f4ab, v165
	v_fmamk_f32 v176, v82, 0x3f6eb680, v195
	s_delay_alu instid0(VALU_DEP_1) | instskip(SKIP_3) | instid1(VALU_DEP_2)
	v_add_f32_e32 v126, v176, v126
	v_fmamk_f32 v176, v84, 0x3dbcf732, v196
	v_fmamk_f32 v177, v70, 0x3f7ee86f, v205
	v_fmac_f32_e32 v205, 0xbf7ee86f, v70
	v_dual_add_f32 v126, v176, v126 :: v_dual_add_f32 v57, v177, v57
	v_fmamk_f32 v177, v71, 0x3f4c4adb, v206
	v_fmamk_f32 v176, v83, 0xbf59a7d5, v189
	s_delay_alu instid0(VALU_DEP_2) | instskip(SKIP_2) | instid1(VALU_DEP_2)
	v_dual_fmac_f32 v160, 0x3f2c7751, v78 :: v_dual_add_f32 v57, v177, v57
	v_fmamk_f32 v177, v69, 0x3e3c28d5, v207
	v_fmac_f32_e32 v207, 0xbe3c28d5, v69
	v_add_f32_e32 v177, v177, v57
	v_add_f32_e32 v57, v176, v126
	v_fmamk_f32 v126, v76, 0x3f3d2fb0, v209
	v_mul_f32_e32 v176, 0xbf4c4adb, v161
	s_delay_alu instid0(VALU_DEP_4) | instskip(NEXT) | instid1(VALU_DEP_3)
	v_dual_fmac_f32 v178, 0xbf65296c, v74 :: v_dual_add_f32 v177, v190, v177
	v_dual_fmamk_f32 v190, v73, 0xbf763a35, v210 :: v_dual_add_f32 v199, v32, v126
	v_mul_f32_e32 v126, 0x3f6eb680, v174
	s_delay_alu instid0(VALU_DEP_4) | instskip(SKIP_1) | instid1(VALU_DEP_4)
	v_fmamk_f32 v203, v79, 0xbf1a4643, v176
	v_fmac_f32_e32 v108, 0x3f2c7751, v75
	v_dual_add_f32 v190, v190, v177 :: v_dual_add_f32 v201, v201, v199
	v_mul_f32_e32 v177, 0xbe3c28d5, v168
	v_fmamk_f32 v212, v78, 0xbeb8f4ab, v126
	s_delay_alu instid0(VALU_DEP_3) | instskip(NEXT) | instid1(VALU_DEP_4)
	v_dual_mul_f32 v199, 0x3f6eb680, v60 :: v_dual_add_f32 v202, v202, v190
	v_add_f32_e32 v203, v203, v201
	s_delay_alu instid0(VALU_DEP_4)
	v_fmamk_f32 v213, v80, 0xbf7ba420, v177
	v_mul_f32_e32 v190, 0x3f06c442, v169
	v_mul_f32_e32 v201, 0x3f3d2fb0, v188
	;; [unrolled: 1-line block ×3, first 2 shown]
	v_add_f32_e32 v60, v212, v202
	v_dual_fmamk_f32 v202, v74, 0x3eb8f4ab, v199 :: v_dual_add_f32 v203, v213, v203
	v_fmamk_f32 v212, v81, 0xbf59a7d5, v190
	v_fmamk_f32 v214, v70, 0x3f2c7751, v201
	;; [unrolled: 1-line block ×3, first 2 shown]
	v_dual_fmac_f32 v110, 0xbf2c7751, v73 :: v_dual_fmac_f32 v201, 0xbf2c7751, v70
	s_delay_alu instid0(VALU_DEP_4)
	v_dual_add_f32 v212, v212, v203 :: v_dual_mul_f32 v203, 0x3dbcf732, v181
	v_mul_f32_e32 v181, 0x3eb8f4ab, v173
	v_add_f32_e32 v213, v33, v202
	v_mul_f32_e32 v202, 0x3ee437d1, v186
	v_mul_f32_e32 v186, 0x3f65296c, v172
	v_add_f32_e32 v212, v215, v212
	s_delay_alu instid0(VALU_DEP_4) | instskip(NEXT) | instid1(VALU_DEP_4)
	v_dual_fmac_f32 v152, 0x3f06c442, v70 :: v_dual_add_f32 v213, v214, v213
	v_fmamk_f32 v214, v71, 0x3f65296c, v202
	s_delay_alu instid0(VALU_DEP_4) | instskip(SKIP_1) | instid1(VALU_DEP_3)
	v_dual_fmamk_f32 v215, v84, 0x3ee437d1, v186 :: v_dual_add_f32 v0, v2, v0
	v_dual_add_f32 v2, v94, v3 :: v_dual_add_f32 v3, v32, v4
	v_dual_add_f32 v213, v214, v213 :: v_dual_fmamk_f32 v214, v69, 0x3f7ee86f, v203
	s_delay_alu instid0(VALU_DEP_3) | instskip(SKIP_2) | instid1(VALU_DEP_4)
	v_add_f32_e32 v212, v215, v212
	v_fmamk_f32 v215, v83, 0x3f6eb680, v181
	v_fma_f32 v4, 0x3f6eb680, v77, -v95
	v_dual_add_f32 v2, v93, v2 :: v_dual_add_f32 v213, v214, v213
	s_delay_alu instid0(VALU_DEP_3) | instskip(SKIP_1) | instid1(VALU_DEP_4)
	v_dual_fmamk_f32 v214, v72, 0x3f763a35, v182 :: v_dual_add_f32 v59, v215, v212
	v_fmamk_f32 v14, v78, 0x3e3c28d5, v13
	v_add_f32_e32 v4, v4, v3
	s_delay_alu instid0(VALU_DEP_3) | instskip(SKIP_1) | instid1(VALU_DEP_3)
	v_dual_add_f32 v3, v100, v2 :: v_dual_add_f32 v212, v214, v213
	v_fma_f32 v2, 0xbf59a7d5, v76, -v119
	v_dual_fmac_f32 v199, 0xbeb8f4ab, v74 :: v_dual_add_f32 v4, v5, v4
	v_fma_f32 v5, 0x3f3d2fb0, v80, -v85
	s_delay_alu instid0(VALU_DEP_4) | instskip(NEXT) | instid1(VALU_DEP_4)
	v_add_f32_e32 v38, v39, v212
	v_dual_fmamk_f32 v39, v75, 0x3f06c442, v34 :: v_dual_add_f32 v2, v32, v2
	v_fmac_f32_e32 v104, 0xbf06c442, v69
	s_delay_alu instid0(VALU_DEP_4) | instskip(SKIP_1) | instid1(VALU_DEP_4)
	v_add_f32_e32 v4, v5, v4
	v_fma_f32 v5, 0xbf1a4643, v81, -v86
	v_dual_add_f32 v38, v39, v38 :: v_dual_add_f32 v39, v32, v41
	v_fmamk_f32 v41, v77, 0x3f3d2fb0, v40
	v_fmac_f32_e32 v202, 0xbf65296c, v71
	s_delay_alu instid0(VALU_DEP_4) | instskip(SKIP_1) | instid1(VALU_DEP_4)
	v_add_f32_e32 v4, v5, v4
	v_fma_f32 v5, 0x3ee437d1, v82, -v87
	v_dual_fmac_f32 v203, 0xbf7ee86f, v69 :: v_dual_add_f32 v36, v41, v39
	v_mul_f32_e32 v39, 0xbf7ee86f, v168
	v_fmac_f32_e32 v182, 0xbf763a35, v72
	s_delay_alu instid0(VALU_DEP_4) | instskip(SKIP_1) | instid1(VALU_DEP_4)
	v_add_f32_e32 v4, v5, v4
	v_fma_f32 v5, 0xbe8c1d8e, v84, -v98
	v_dual_add_f32 v17, v37, v36 :: v_dual_fmamk_f32 v36, v80, 0x3dbcf732, v39
	v_dual_mul_f32 v37, 0xbe3c28d5, v173 :: v_dual_add_f32 v12, v14, v38
	s_delay_alu instid0(VALU_DEP_3) | instskip(SKIP_1) | instid1(VALU_DEP_4)
	v_add_f32_e32 v4, v5, v4
	v_fma_f32 v5, 0x3dbcf732, v83, -v99
	v_add_f32_e32 v14, v36, v17
	v_mul_f32_e32 v36, 0xbf06c442, v172
	v_fmamk_f32 v7, v83, 0xbf7ba420, v37
	v_fmac_f32_e32 v34, 0xbf06c442, v75
	v_fmac_f32_e32 v126, 0x3eb8f4ab, v78
	v_add_f32_e32 v14, v16, v14
	v_fmamk_f32 v8, v84, 0xbf59a7d5, v36
	v_fma_f32 v16, 0xbf7ba420, v77, -v180
	v_fma_f32 v17, 0xbf59a7d5, v82, -v200
	;; [unrolled: 1-line block ×3, first 2 shown]
	v_add_f32_e32 v10, v15, v14
	v_fma_f32 v15, 0xbf59a7d5, v77, -v158
	v_fmac_f32_e32 v146, 0x3f2c7751, v72
	v_fmac_f32_e32 v206, 0xbf4c4adb, v71
	;; [unrolled: 1-line block ×3, first 2 shown]
	v_add_f32_e32 v6, v8, v10
	v_fma_f32 v8, 0xbf7ba420, v82, -v141
	v_fma_f32 v10, 0xbe8c1d8e, v77, -v133
	;; [unrolled: 1-line block ×3, first 2 shown]
	s_delay_alu instid0(VALU_DEP_4) | instskip(SKIP_4) | instid1(VALU_DEP_4)
	v_dual_fmac_f32 v210, 0x3f763a35, v73 :: v_dual_add_f32 v11, v7, v6
	v_add_f32_e32 v6, v33, v115
	v_fma_f32 v7, 0x3ee437d1, v77, -v120
	v_fmac_f32_e32 v13, 0xbe3c28d5, v78
	v_fma_f32 v37, 0xbf7ba420, v83, -v37
	v_add_f32_e32 v6, v101, v6
	s_delay_alu instid0(VALU_DEP_4) | instskip(SKIP_1) | instid1(VALU_DEP_3)
	v_add_f32_e32 v2, v7, v2
	v_fma_f32 v7, 0x3dbcf732, v79, -v121
	v_add_f32_e32 v6, v102, v6
	s_delay_alu instid0(VALU_DEP_2) | instskip(SKIP_1) | instid1(VALU_DEP_3)
	v_add_f32_e32 v2, v7, v2
	v_fma_f32 v7, 0xbf1a4643, v80, -v124
	v_add_f32_e32 v6, v106, v6
	s_delay_alu instid0(VALU_DEP_2) | instskip(SKIP_1) | instid1(VALU_DEP_3)
	v_add_f32_e32 v2, v7, v2
	v_fma_f32 v7, 0x3f6eb680, v81, -v140
	v_add_f32_e32 v6, v107, v6
	s_delay_alu instid0(VALU_DEP_2) | instskip(NEXT) | instid1(VALU_DEP_2)
	v_add_f32_e32 v7, v7, v2
	v_add_f32_e32 v6, v113, v6
	;; [unrolled: 1-line block ×3, first 2 shown]
	s_delay_alu instid0(VALU_DEP_2) | instskip(NEXT) | instid1(VALU_DEP_4)
	v_add_f32_e32 v4, v108, v6
	v_add_f32_e32 v6, v8, v7
	v_fma_f32 v7, 0x3f3d2fb0, v84, -v129
	v_add_f32_e32 v8, v33, v117
	s_delay_alu instid0(VALU_DEP_4) | instskip(SKIP_1) | instid1(VALU_DEP_4)
	v_add_f32_e32 v5, v109, v4
	v_fma_f32 v4, 0xbf1a4643, v76, -v131
	v_add_f32_e32 v6, v7, v6
	v_fma_f32 v7, 0xbe8c1d8e, v83, -v116
	v_add_f32_e32 v8, v114, v8
	s_delay_alu instid0(VALU_DEP_2) | instskip(NEXT) | instid1(VALU_DEP_1)
	v_dual_add_f32 v9, v32, v4 :: v_dual_add_f32 v4, v7, v6
	v_add_f32_e32 v7, v10, v9
	v_add_f32_e32 v9, v33, v151
	v_fma_f32 v10, 0xbf7ba420, v84, -v136
	s_delay_alu instid0(VALU_DEP_2) | instskip(SKIP_3) | instid1(VALU_DEP_2)
	v_dual_add_f32 v9, v152, v9 :: v_dual_add_f32 v0, v53, v0
	v_fma_f32 v53, 0x3dbcf732, v77, -v211
	v_add_f32_e32 v6, v103, v8
	v_fma_f32 v8, 0x3f6eb680, v79, -v122
	v_dual_add_f32 v9, v153, v9 :: v_dual_add_f32 v6, v104, v6
	s_delay_alu instid0(VALU_DEP_2) | instskip(SKIP_1) | instid1(VALU_DEP_3)
	v_add_f32_e32 v7, v8, v7
	v_fma_f32 v8, 0xbf59a7d5, v80, -v123
	v_dual_add_f32 v9, v154, v9 :: v_dual_add_f32 v6, v105, v6
	s_delay_alu instid0(VALU_DEP_2) | instskip(SKIP_1) | instid1(VALU_DEP_3)
	;; [unrolled: 4-line block ×3, first 2 shown]
	v_add_f32_e32 v7, v8, v7
	v_fma_f32 v8, 0x3f3d2fb0, v82, -v135
	v_dual_add_f32 v6, v111, v6 :: v_dual_add_f32 v9, v157, v9
	s_delay_alu instid0(VALU_DEP_2) | instskip(NEXT) | instid1(VALU_DEP_2)
	v_add_f32_e32 v8, v8, v7
	v_add_f32_e32 v7, v112, v6
	v_fma_f32 v6, 0xbe8c1d8e, v76, -v156
	s_delay_alu instid0(VALU_DEP_3) | instskip(SKIP_1) | instid1(VALU_DEP_3)
	v_add_f32_e32 v8, v10, v8
	v_fma_f32 v10, 0x3ee437d1, v83, -v125
	v_add_f32_e32 v14, v32, v6
	s_delay_alu instid0(VALU_DEP_2) | instskip(SKIP_1) | instid1(VALU_DEP_3)
	v_add_f32_e32 v6, v10, v8
	v_add_f32_e32 v8, v137, v9
	;; [unrolled: 1-line block ×3, first 2 shown]
	v_fma_f32 v14, 0x3f3d2fb0, v79, -v139
	v_add_f32_e32 v15, v33, v170
	s_delay_alu instid0(VALU_DEP_4) | instskip(SKIP_1) | instid1(VALU_DEP_4)
	v_add_f32_e32 v9, v138, v8
	v_fma_f32 v8, 0x3dbcf732, v76, -v179
	v_add_f32_e32 v10, v14, v10
	v_fma_f32 v14, 0x3ee437d1, v80, -v118
	s_delay_alu instid0(VALU_DEP_3) | instskip(NEXT) | instid1(VALU_DEP_2)
	v_dual_add_f32 v15, v142, v15 :: v_dual_add_f32 v8, v32, v8
	v_add_f32_e32 v10, v14, v10
	v_fma_f32 v14, 0xbf7ba420, v81, -v127
	s_delay_alu instid0(VALU_DEP_3) | instskip(SKIP_1) | instid1(VALU_DEP_3)
	v_dual_add_f32 v15, v143, v15 :: v_dual_add_f32 v8, v16, v8
	v_fma_f32 v16, 0xbe8c1d8e, v79, -v183
	v_add_f32_e32 v10, v14, v10
	v_fma_f32 v14, 0x3dbcf732, v82, -v128
	s_delay_alu instid0(VALU_DEP_3) | instskip(SKIP_1) | instid1(VALU_DEP_3)
	v_dual_add_f32 v15, v147, v15 :: v_dual_add_f32 v8, v16, v8
	v_fma_f32 v16, 0x3f6eb680, v80, -v187
	;; [unrolled: 5-line block ×3, first 2 shown]
	v_add_f32_e32 v10, v14, v10
	v_fma_f32 v14, 0xbf1a4643, v83, -v132
	s_delay_alu instid0(VALU_DEP_3) | instskip(NEXT) | instid1(VALU_DEP_2)
	v_dual_add_f32 v15, v166, v15 :: v_dual_add_f32 v16, v16, v8
	v_add_f32_e32 v8, v14, v10
	s_delay_alu instid0(VALU_DEP_2) | instskip(NEXT) | instid1(VALU_DEP_3)
	v_add_f32_e32 v10, v159, v15
	v_add_f32_e32 v14, v17, v16
	v_fma_f32 v16, 0xbf1a4643, v84, -v191
	v_add_f32_e32 v17, v33, v178
	s_delay_alu instid0(VALU_DEP_4) | instskip(SKIP_1) | instid1(VALU_DEP_4)
	v_add_f32_e32 v15, v160, v10
	v_fma_f32 v10, 0x3ee437d1, v76, -v192
	v_add_f32_e32 v14, v16, v14
	v_fma_f32 v16, 0x3f3d2fb0, v83, -v175
	s_delay_alu instid0(VALU_DEP_3) | instskip(NEXT) | instid1(VALU_DEP_2)
	v_dual_add_f32 v17, v167, v17 :: v_dual_add_f32 v10, v32, v10
	v_add_f32_e32 v14, v16, v14
	s_delay_alu instid0(VALU_DEP_2) | instskip(SKIP_1) | instid1(VALU_DEP_4)
	v_add_f32_e32 v16, v144, v17
	v_fma_f32 v17, 0xbf7ba420, v79, -v184
	v_add_f32_e32 v10, v38, v10
	v_add_f32_e32 v38, v33, v204
	;; [unrolled: 1-line block ×4, first 2 shown]
	s_delay_alu instid0(VALU_DEP_4) | instskip(SKIP_2) | instid1(VALU_DEP_4)
	v_add_f32_e32 v10, v17, v10
	v_fma_f32 v17, 0xbe8c1d8e, v80, -v185
	v_add_f32_e32 v38, v205, v38
	v_dual_add_f32 v16, v146, v16 :: v_dual_add_f32 v33, v201, v33
	s_delay_alu instid0(VALU_DEP_3) | instskip(SKIP_1) | instid1(VALU_DEP_4)
	v_add_f32_e32 v10, v17, v10
	v_fma_f32 v17, 0x3f3d2fb0, v81, -v194
	v_add_f32_e32 v38, v206, v38
	s_delay_alu instid0(VALU_DEP_4) | instskip(NEXT) | instid1(VALU_DEP_3)
	v_add_f32_e32 v16, v162, v16
	v_dual_add_f32 v33, v202, v33 :: v_dual_add_f32 v10, v17, v10
	v_fma_f32 v17, 0x3f6eb680, v82, -v195
	s_delay_alu instid0(VALU_DEP_4) | instskip(NEXT) | instid1(VALU_DEP_4)
	v_add_f32_e32 v38, v207, v38
	v_add_f32_e32 v16, v163, v16
	s_delay_alu instid0(VALU_DEP_3) | instskip(NEXT) | instid1(VALU_DEP_3)
	v_dual_add_f32 v33, v203, v33 :: v_dual_add_f32 v10, v17, v10
	v_add_f32_e32 v38, v208, v38
	s_delay_alu instid0(VALU_DEP_3) | instskip(SKIP_1) | instid1(VALU_DEP_4)
	v_add_f32_e32 v17, v164, v16
	v_fma_f32 v16, 0x3f3d2fb0, v76, -v209
	v_dual_add_f32 v33, v182, v33 :: v_dual_add_f32 v10, v41, v10
	v_fma_f32 v41, 0xbf59a7d5, v83, -v189
	s_delay_alu instid0(VALU_DEP_3) | instskip(NEXT) | instid1(VALU_DEP_3)
	v_dual_add_f32 v38, v210, v38 :: v_dual_add_f32 v43, v32, v16
	v_add_f32_e32 v33, v35, v33
	v_fma_f32 v35, 0x3f6eb680, v83, -v181
	s_delay_alu instid0(VALU_DEP_4) | instskip(NEXT) | instid1(VALU_DEP_4)
	v_add_f32_e32 v16, v41, v10
	v_add_f32_e32 v10, v197, v38
	v_fma_f32 v38, 0x3f6eb680, v76, -v148
	v_add_f32_e32 v41, v53, v43
	v_fma_f32 v43, 0xbf1a4643, v79, -v176
	s_delay_alu instid0(VALU_DEP_3) | instskip(SKIP_1) | instid1(VALU_DEP_3)
	v_dual_add_f32 v33, v34, v33 :: v_dual_add_f32 v32, v32, v38
	v_fma_f32 v38, 0x3f3d2fb0, v77, -v40
	v_add_f32_e32 v40, v43, v41
	v_fma_f32 v41, 0xbf7ba420, v80, -v177
	s_delay_alu instid0(VALU_DEP_3) | instskip(SKIP_1) | instid1(VALU_DEP_3)
	v_dual_add_f32 v33, v13, v33 :: v_dual_add_f32 v32, v38, v32
	v_fma_f32 v38, 0x3ee437d1, v79, -v42
	v_add_f32_e32 v40, v41, v40
	v_fma_f32 v41, 0xbf59a7d5, v81, -v190
	s_delay_alu instid0(VALU_DEP_3) | instskip(SKIP_1) | instid1(VALU_DEP_3)
	v_add_f32_e32 v32, v38, v32
	v_fma_f32 v38, 0x3dbcf732, v80, -v39
	v_add_f32_e32 v39, v41, v40
	v_fma_f32 v40, 0xbe8c1d8e, v82, -v188
	s_delay_alu instid0(VALU_DEP_3) | instskip(NEXT) | instid1(VALU_DEP_2)
	v_add_f32_e32 v32, v38, v32
	v_add_f32_e32 v38, v40, v39
	v_fma_f32 v39, 0x3ee437d1, v84, -v186
	s_delay_alu instid0(VALU_DEP_3) | instskip(NEXT) | instid1(VALU_DEP_2)
	v_add_f32_e32 v19, v19, v32
	v_add_f32_e32 v32, v39, v38
	s_delay_alu instid0(VALU_DEP_2) | instskip(SKIP_2) | instid1(VALU_DEP_2)
	v_add_f32_e32 v18, v18, v19
	v_fma_f32 v19, 0xbf59a7d5, v84, -v36
	v_and_b32_e32 v36, 0xffff, v66
	v_add_f32_e32 v34, v19, v18
	v_add_f32_e32 v19, v126, v10
	s_delay_alu instid0(VALU_DEP_3) | instskip(SKIP_1) | instid1(VALU_DEP_4)
	v_lshl_add_u32 v36, v36, 3, v65
	v_add_f32_e32 v18, v35, v32
	v_add_f32_e32 v32, v37, v34
	ds_store_2addr_b64 v36, v[0:1], v[11:12] offset1:1
	ds_store_2addr_b64 v36, v[59:60], v[57:58] offset0:2 offset1:3
	ds_store_2addr_b64 v36, v[55:56], v[50:51] offset0:4 offset1:5
	;; [unrolled: 1-line block ×7, first 2 shown]
	ds_store_b64 v36, v[32:33] offset:128
.LBB0_13:
	s_wait_alu 0xfffe
	s_or_b32 exec_lo, exec_lo, s4
	global_wb scope:SCOPE_SE
	s_wait_dscnt 0x0
	s_barrier_signal -1
	s_barrier_wait -1
	global_inv scope:SCOPE_SE
	ds_load_2addr_b64 v[0:3], v68 offset1:17
	ds_load_2addr_b64 v[4:7], v68 offset0:34 offset1:51
	ds_load_2addr_b64 v[8:11], v68 offset0:68 offset1:85
	ds_load_b64 v[12:13], v68 offset:816
	s_wait_dscnt 0x2
	v_dual_mul_f32 v14, v29, v3 :: v_dual_mul_f32 v17, v31, v4
	v_dual_mul_f32 v15, v29, v2 :: v_dual_mul_f32 v16, v31, v5
	v_mul_f32_e32 v18, v25, v7
	v_mul_f32_e32 v19, v25, v6
	s_wait_dscnt 0x1
	v_mul_f32_e32 v25, v27, v9
	v_dual_mul_f32 v27, v27, v8 :: v_dual_fmac_f32 v14, v28, v2
	v_dual_mul_f32 v29, v21, v11 :: v_dual_fmac_f32 v18, v24, v6
	v_fma_f32 v2, v28, v3, -v15
	s_wait_dscnt 0x0
	v_mul_f32_e32 v31, v23, v13
	v_mul_f32_e32 v23, v23, v12
	v_fmac_f32_e32 v16, v30, v4
	v_fma_f32 v4, v24, v7, -v19
	v_fma_f32 v7, v26, v9, -v27
	v_fmac_f32_e32 v29, v20, v10
	v_fma_f32 v6, v22, v13, -v23
	v_fma_f32 v3, v30, v5, -v17
	s_delay_alu instid0(VALU_DEP_4) | instskip(NEXT) | instid1(VALU_DEP_3)
	v_dual_add_f32 v13, v4, v7 :: v_dual_sub_f32 v4, v7, v4
	v_add_f32_e32 v9, v2, v6
	v_sub_f32_e32 v2, v2, v6
	v_dual_fmac_f32 v31, v22, v12 :: v_dual_sub_f32 v12, v16, v29
	v_mul_f32_e32 v5, v21, v10
	v_dual_fmac_f32 v25, v26, v8 :: v_dual_add_f32 v6, v16, v29
	s_delay_alu instid0(VALU_DEP_3) | instskip(SKIP_1) | instid1(VALU_DEP_4)
	v_sub_f32_e32 v10, v14, v31
	v_add_f32_e32 v8, v14, v31
	v_fma_f32 v5, v20, v11, -v5
	s_delay_alu instid0(VALU_DEP_4) | instskip(NEXT) | instid1(VALU_DEP_2)
	v_sub_f32_e32 v14, v25, v18
	v_dual_sub_f32 v16, v6, v8 :: v_dual_add_f32 v11, v3, v5
	v_sub_f32_e32 v3, v3, v5
	v_add_f32_e32 v5, v18, v25
	s_delay_alu instid0(VALU_DEP_4)
	v_add_f32_e32 v18, v14, v12
	v_sub_f32_e32 v20, v14, v12
	v_sub_f32_e32 v12, v12, v10
	;; [unrolled: 1-line block ×3, first 2 shown]
	v_add_f32_e32 v19, v4, v3
	v_dual_add_f32 v7, v6, v8 :: v_dual_sub_f32 v8, v8, v5
	v_dual_add_f32 v15, v11, v9 :: v_dual_sub_f32 v14, v10, v14
	v_dual_sub_f32 v17, v11, v9 :: v_dual_sub_f32 v4, v2, v4
	v_sub_f32_e32 v6, v5, v6
	v_sub_f32_e32 v3, v3, v2
	v_dual_add_f32 v2, v19, v2 :: v_dual_add_f32 v5, v5, v7
	v_dual_mul_f32 v8, 0x3f4a47b2, v8 :: v_dual_add_f32 v7, v13, v15
	v_dual_sub_f32 v9, v9, v13 :: v_dual_add_f32 v10, v18, v10
	s_delay_alu instid0(VALU_DEP_3) | instskip(NEXT) | instid1(VALU_DEP_3)
	v_dual_sub_f32 v11, v13, v11 :: v_dual_add_f32 v0, v0, v5
	v_dual_mul_f32 v18, 0x3f08b237, v20 :: v_dual_add_f32 v1, v1, v7
	v_mul_f32_e32 v20, 0xbf5ff5aa, v12
	s_delay_alu instid0(VALU_DEP_3) | instskip(SKIP_1) | instid1(VALU_DEP_4)
	v_fmamk_f32 v5, v5, 0xbf955555, v0
	v_dual_mul_f32 v13, 0x3d64c772, v6 :: v_dual_fmamk_f32 v6, v6, 0x3d64c772, v8
	v_fmamk_f32 v7, v7, 0xbf955555, v1
	v_mul_f32_e32 v19, 0x3f08b237, v21
	v_fma_f32 v8, 0xbf3bfb3b, v16, -v8
	s_delay_alu instid0(VALU_DEP_4)
	v_fma_f32 v13, 0x3f3bfb3b, v16, -v13
	v_fmamk_f32 v16, v14, 0xbeae86e6, v18
	v_fma_f32 v12, 0xbf5ff5aa, v12, -v18
	v_fma_f32 v18, 0xbf5ff5aa, v3, -v19
	;; [unrolled: 1-line block ×3, first 2 shown]
	v_add_f32_e32 v20, v6, v5
	v_mul_f32_e32 v9, 0x3f4a47b2, v9
	v_fmac_f32_e32 v12, 0xbee1c552, v10
	v_fmac_f32_e32 v18, 0xbee1c552, v2
	v_mul_f32_e32 v15, 0x3d64c772, v11
	v_fmac_f32_e32 v14, 0xbee1c552, v10
	v_fmamk_f32 v11, v11, 0x3d64c772, v9
	v_fma_f32 v9, 0xbf3bfb3b, v17, -v9
	s_delay_alu instid0(VALU_DEP_4) | instskip(NEXT) | instid1(VALU_DEP_2)
	v_fma_f32 v15, 0x3f3bfb3b, v17, -v15
	v_dual_add_f32 v22, v9, v7 :: v_dual_fmamk_f32 v17, v4, 0xbeae86e6, v19
	v_fmac_f32_e32 v16, 0xbee1c552, v10
	s_delay_alu instid0(VALU_DEP_2) | instskip(SKIP_1) | instid1(VALU_DEP_1)
	v_fmac_f32_e32 v17, 0xbee1c552, v2
	v_mul_f32_e32 v21, 0xbf5ff5aa, v3
	v_fma_f32 v19, 0x3eae86e6, v4, -v21
	v_add_f32_e32 v21, v11, v7
	v_add_f32_e32 v11, v13, v5
	v_add_f32_e32 v13, v15, v7
	v_add_f32_e32 v15, v8, v5
	v_fmac_f32_e32 v19, 0xbee1c552, v2
	v_sub_f32_e32 v3, v21, v16
	v_sub_f32_e32 v5, v22, v14
	v_dual_sub_f32 v6, v11, v18 :: v_dual_add_f32 v7, v12, v13
	s_delay_alu instid0(VALU_DEP_4)
	v_sub_f32_e32 v10, v15, v19
	v_add_f32_e32 v2, v17, v20
	v_add_f32_e32 v4, v19, v15
	v_dual_add_f32 v8, v18, v11 :: v_dual_sub_f32 v9, v13, v12
	v_dual_add_f32 v11, v14, v22 :: v_dual_sub_f32 v12, v20, v17
	v_add_f32_e32 v13, v16, v21
	ds_store_2addr_b64 v67, v[0:1], v[2:3] offset1:17
	ds_store_2addr_b64 v67, v[4:5], v[6:7] offset0:34 offset1:51
	ds_store_2addr_b64 v67, v[8:9], v[10:11] offset0:68 offset1:85
	ds_store_b64 v67, v[12:13] offset:816
	global_wb scope:SCOPE_SE
	s_wait_dscnt 0x0
	s_barrier_signal -1
	s_barrier_wait -1
	global_inv scope:SCOPE_SE
	s_and_b32 exec_lo, exec_lo, vcc_lo
	s_cbranch_execz .LBB0_15
; %bb.14:
	global_load_b64 v[0:1], v62, s[8:9]
	ds_load_b64 v[2:3], v67
	v_mad_co_u64_u32 v[6:7], null, s0, v64, 0
	s_mov_b32 s4, 0x1135c811
	s_mov_b32 s5, 0x3f8135c8
	s_wait_loadcnt_dscnt 0x0
	v_mul_f32_e32 v4, v3, v1
	v_mul_f32_e32 v1, v2, v1
	s_delay_alu instid0(VALU_DEP_2) | instskip(NEXT) | instid1(VALU_DEP_2)
	v_fmac_f32_e32 v4, v2, v0
	v_fma_f32 v2, v0, v3, -v1
	s_delay_alu instid0(VALU_DEP_2) | instskip(NEXT) | instid1(VALU_DEP_2)
	v_cvt_f64_f32_e32 v[0:1], v4
	v_cvt_f64_f32_e32 v[2:3], v2
	v_mad_co_u64_u32 v[4:5], null, s2, v52, 0
	s_wait_alu 0xfffe
	s_delay_alu instid0(VALU_DEP_3) | instskip(NEXT) | instid1(VALU_DEP_3)
	v_mul_f64_e32 v[0:1], s[4:5], v[0:1]
	v_mul_f64_e32 v[2:3], s[4:5], v[2:3]
	s_delay_alu instid0(VALU_DEP_2) | instskip(NEXT) | instid1(VALU_DEP_2)
	v_cvt_f32_f64_e32 v0, v[0:1]
	v_cvt_f32_f64_e32 v1, v[2:3]
	v_dual_mov_b32 v3, v7 :: v_dual_mov_b32 v2, v5
	s_delay_alu instid0(VALU_DEP_1) | instskip(SKIP_2) | instid1(VALU_DEP_2)
	v_mad_co_u64_u32 v[7:8], null, s3, v52, v[2:3]
	v_mad_co_u64_u32 v[2:3], null, s1, v64, v[3:4]
	s_mul_u64 s[2:3], s[0:1], 56
	v_mov_b32_e32 v5, v7
	s_delay_alu instid0(VALU_DEP_2) | instskip(NEXT) | instid1(VALU_DEP_2)
	v_mov_b32_e32 v7, v2
	v_lshlrev_b64_e32 v[2:3], 3, v[4:5]
	s_delay_alu instid0(VALU_DEP_2) | instskip(NEXT) | instid1(VALU_DEP_2)
	v_lshlrev_b64_e32 v[4:5], 3, v[6:7]
	v_add_co_u32 v8, vcc_lo, s12, v2
	s_delay_alu instid0(VALU_DEP_3) | instskip(NEXT) | instid1(VALU_DEP_2)
	v_add_co_ci_u32_e32 v9, vcc_lo, s13, v3, vcc_lo
	v_add_co_u32 v4, vcc_lo, v8, v4
	s_wait_alu 0xfffd
	s_delay_alu instid0(VALU_DEP_2)
	v_add_co_ci_u32_e32 v5, vcc_lo, v9, v5, vcc_lo
	global_store_b64 v[4:5], v[0:1], off
	global_load_b64 v[6:7], v62, s[8:9] offset:56
	ds_load_2addr_b64 v[0:3], v67 offset0:7 offset1:14
	s_wait_alu 0xfffe
	v_add_co_u32 v4, vcc_lo, v4, s2
	s_wait_alu 0xfffd
	v_add_co_ci_u32_e32 v5, vcc_lo, s3, v5, vcc_lo
	s_wait_loadcnt_dscnt 0x0
	v_mul_f32_e32 v10, v1, v7
	v_mul_f32_e32 v7, v0, v7
	s_delay_alu instid0(VALU_DEP_2) | instskip(NEXT) | instid1(VALU_DEP_2)
	v_fmac_f32_e32 v10, v0, v6
	v_fma_f32 v6, v6, v1, -v7
	s_delay_alu instid0(VALU_DEP_2) | instskip(NEXT) | instid1(VALU_DEP_2)
	v_cvt_f64_f32_e32 v[0:1], v10
	v_cvt_f64_f32_e32 v[6:7], v6
	s_delay_alu instid0(VALU_DEP_2) | instskip(NEXT) | instid1(VALU_DEP_2)
	v_mul_f64_e32 v[0:1], s[4:5], v[0:1]
	v_mul_f64_e32 v[6:7], s[4:5], v[6:7]
	s_delay_alu instid0(VALU_DEP_2) | instskip(NEXT) | instid1(VALU_DEP_2)
	v_cvt_f32_f64_e32 v0, v[0:1]
	v_cvt_f32_f64_e32 v1, v[6:7]
	global_store_b64 v[4:5], v[0:1], off
	global_load_b64 v[0:1], v62, s[8:9] offset:112
	v_add_co_u32 v4, vcc_lo, v4, s2
	s_wait_alu 0xfffd
	v_add_co_ci_u32_e32 v5, vcc_lo, s3, v5, vcc_lo
	s_wait_loadcnt 0x0
	v_mul_f32_e32 v6, v3, v1
	v_mul_f32_e32 v1, v2, v1
	s_delay_alu instid0(VALU_DEP_2) | instskip(NEXT) | instid1(VALU_DEP_2)
	v_fmac_f32_e32 v6, v2, v0
	v_fma_f32 v2, v0, v3, -v1
	s_delay_alu instid0(VALU_DEP_2) | instskip(NEXT) | instid1(VALU_DEP_2)
	v_cvt_f64_f32_e32 v[0:1], v6
	v_cvt_f64_f32_e32 v[2:3], v2
	s_delay_alu instid0(VALU_DEP_2) | instskip(NEXT) | instid1(VALU_DEP_2)
	v_mul_f64_e32 v[0:1], s[4:5], v[0:1]
	v_mul_f64_e32 v[2:3], s[4:5], v[2:3]
	s_delay_alu instid0(VALU_DEP_2) | instskip(NEXT) | instid1(VALU_DEP_2)
	v_cvt_f32_f64_e32 v0, v[0:1]
	v_cvt_f32_f64_e32 v1, v[2:3]
	global_store_b64 v[4:5], v[0:1], off
	global_load_b64 v[6:7], v62, s[8:9] offset:168
	ds_load_2addr_b64 v[0:3], v67 offset0:21 offset1:28
	v_add_co_u32 v4, vcc_lo, v4, s2
	s_wait_alu 0xfffd
	v_add_co_ci_u32_e32 v5, vcc_lo, s3, v5, vcc_lo
	s_wait_loadcnt_dscnt 0x0
	v_mul_f32_e32 v10, v1, v7
	v_mul_f32_e32 v7, v0, v7
	s_delay_alu instid0(VALU_DEP_2) | instskip(NEXT) | instid1(VALU_DEP_2)
	v_fmac_f32_e32 v10, v0, v6
	v_fma_f32 v6, v6, v1, -v7
	s_delay_alu instid0(VALU_DEP_2) | instskip(NEXT) | instid1(VALU_DEP_2)
	v_cvt_f64_f32_e32 v[0:1], v10
	v_cvt_f64_f32_e32 v[6:7], v6
	s_delay_alu instid0(VALU_DEP_2) | instskip(NEXT) | instid1(VALU_DEP_2)
	v_mul_f64_e32 v[0:1], s[4:5], v[0:1]
	v_mul_f64_e32 v[6:7], s[4:5], v[6:7]
	s_delay_alu instid0(VALU_DEP_2) | instskip(NEXT) | instid1(VALU_DEP_2)
	v_cvt_f32_f64_e32 v0, v[0:1]
	v_cvt_f32_f64_e32 v1, v[6:7]
	global_store_b64 v[4:5], v[0:1], off
	global_load_b64 v[0:1], v62, s[8:9] offset:224
	v_add_co_u32 v4, vcc_lo, v4, s2
	s_wait_alu 0xfffd
	v_add_co_ci_u32_e32 v5, vcc_lo, s3, v5, vcc_lo
	s_wait_loadcnt 0x0
	v_mul_f32_e32 v6, v3, v1
	v_mul_f32_e32 v1, v2, v1
	s_delay_alu instid0(VALU_DEP_2) | instskip(NEXT) | instid1(VALU_DEP_2)
	v_fmac_f32_e32 v6, v2, v0
	v_fma_f32 v2, v0, v3, -v1
	s_delay_alu instid0(VALU_DEP_2) | instskip(NEXT) | instid1(VALU_DEP_2)
	v_cvt_f64_f32_e32 v[0:1], v6
	v_cvt_f64_f32_e32 v[2:3], v2
	s_delay_alu instid0(VALU_DEP_2) | instskip(NEXT) | instid1(VALU_DEP_2)
	v_mul_f64_e32 v[0:1], s[4:5], v[0:1]
	v_mul_f64_e32 v[2:3], s[4:5], v[2:3]
	s_delay_alu instid0(VALU_DEP_2) | instskip(NEXT) | instid1(VALU_DEP_2)
	v_cvt_f32_f64_e32 v0, v[0:1]
	v_cvt_f32_f64_e32 v1, v[2:3]
	global_store_b64 v[4:5], v[0:1], off
	global_load_b64 v[6:7], v62, s[8:9] offset:280
	ds_load_2addr_b64 v[0:3], v67 offset0:35 offset1:42
	;; [unrolled: 41-line block ×3, first 2 shown]
	v_add_co_u32 v4, vcc_lo, v4, s2
	s_wait_alu 0xfffd
	v_add_co_ci_u32_e32 v5, vcc_lo, s3, v5, vcc_lo
	s_wait_loadcnt_dscnt 0x0
	v_mul_f32_e32 v10, v1, v7
	v_mul_f32_e32 v7, v0, v7
	s_delay_alu instid0(VALU_DEP_2) | instskip(NEXT) | instid1(VALU_DEP_2)
	v_fmac_f32_e32 v10, v0, v6
	v_fma_f32 v6, v6, v1, -v7
	s_delay_alu instid0(VALU_DEP_2) | instskip(NEXT) | instid1(VALU_DEP_2)
	v_cvt_f64_f32_e32 v[0:1], v10
	v_cvt_f64_f32_e32 v[6:7], v6
	s_delay_alu instid0(VALU_DEP_2) | instskip(NEXT) | instid1(VALU_DEP_2)
	v_mul_f64_e32 v[0:1], s[4:5], v[0:1]
	v_mul_f64_e32 v[6:7], s[4:5], v[6:7]
	s_delay_alu instid0(VALU_DEP_2) | instskip(NEXT) | instid1(VALU_DEP_2)
	v_cvt_f32_f64_e32 v0, v[0:1]
	v_cvt_f32_f64_e32 v1, v[6:7]
	global_store_b64 v[4:5], v[0:1], off
	global_load_b64 v[0:1], v62, s[8:9] offset:448
	v_mad_co_u64_u32 v[4:5], null, 0x70, s0, v[4:5]
	s_wait_loadcnt 0x0
	v_mul_f32_e32 v6, v3, v1
	v_mul_f32_e32 v1, v2, v1
	s_delay_alu instid0(VALU_DEP_2) | instskip(NEXT) | instid1(VALU_DEP_2)
	v_fmac_f32_e32 v6, v2, v0
	v_fma_f32 v2, v0, v3, -v1
	s_delay_alu instid0(VALU_DEP_2) | instskip(NEXT) | instid1(VALU_DEP_2)
	v_cvt_f64_f32_e32 v[0:1], v6
	v_cvt_f64_f32_e32 v[2:3], v2
	v_mad_co_u64_u32 v[6:7], null, s0, v63, 0
	s_delay_alu instid0(VALU_DEP_3) | instskip(NEXT) | instid1(VALU_DEP_3)
	v_mul_f64_e32 v[0:1], s[4:5], v[0:1]
	v_mul_f64_e32 v[2:3], s[4:5], v[2:3]
	s_delay_alu instid0(VALU_DEP_2) | instskip(NEXT) | instid1(VALU_DEP_2)
	v_cvt_f32_f64_e32 v0, v[0:1]
	v_cvt_f32_f64_e32 v1, v[2:3]
	v_mov_b32_e32 v2, v7
	s_delay_alu instid0(VALU_DEP_1) | instskip(NEXT) | instid1(VALU_DEP_1)
	v_mad_co_u64_u32 v[2:3], null, s1, v63, v[2:3]
	v_mov_b32_e32 v7, v2
	s_delay_alu instid0(VALU_DEP_1) | instskip(NEXT) | instid1(VALU_DEP_1)
	v_lshlrev_b64_e32 v[2:3], 3, v[6:7]
	v_add_co_u32 v2, vcc_lo, v8, v2
	s_wait_alu 0xfffd
	s_delay_alu instid0(VALU_DEP_2)
	v_add_co_ci_u32_e32 v3, vcc_lo, v9, v3, vcc_lo
	global_store_b64 v[2:3], v[0:1], off
	global_load_b64 v[6:7], v62, s[8:9] offset:504
	ds_load_2addr_b64 v[0:3], v67 offset0:63 offset1:70
	s_wait_loadcnt_dscnt 0x0
	v_mul_f32_e32 v10, v1, v7
	v_mul_f32_e32 v7, v0, v7
	s_delay_alu instid0(VALU_DEP_2) | instskip(NEXT) | instid1(VALU_DEP_2)
	v_fmac_f32_e32 v10, v0, v6
	v_fma_f32 v6, v6, v1, -v7
	s_delay_alu instid0(VALU_DEP_2) | instskip(NEXT) | instid1(VALU_DEP_2)
	v_cvt_f64_f32_e32 v[0:1], v10
	v_cvt_f64_f32_e32 v[6:7], v6
	s_delay_alu instid0(VALU_DEP_2) | instskip(NEXT) | instid1(VALU_DEP_2)
	v_mul_f64_e32 v[0:1], s[4:5], v[0:1]
	v_mul_f64_e32 v[6:7], s[4:5], v[6:7]
	s_delay_alu instid0(VALU_DEP_2) | instskip(NEXT) | instid1(VALU_DEP_2)
	v_cvt_f32_f64_e32 v0, v[0:1]
	v_cvt_f32_f64_e32 v1, v[6:7]
	v_mad_co_u64_u32 v[5:6], null, 0x70, s1, v[5:6]
	global_store_b64 v[4:5], v[0:1], off
	global_load_b64 v[0:1], v62, s[8:9] offset:560
	v_add_co_u32 v4, vcc_lo, v4, s2
	s_wait_alu 0xfffd
	v_add_co_ci_u32_e32 v5, vcc_lo, s3, v5, vcc_lo
	s_wait_loadcnt 0x0
	v_mul_f32_e32 v6, v3, v1
	v_mul_f32_e32 v1, v2, v1
	s_delay_alu instid0(VALU_DEP_2) | instskip(NEXT) | instid1(VALU_DEP_2)
	v_fmac_f32_e32 v6, v2, v0
	v_fma_f32 v2, v0, v3, -v1
	s_delay_alu instid0(VALU_DEP_2) | instskip(NEXT) | instid1(VALU_DEP_2)
	v_cvt_f64_f32_e32 v[0:1], v6
	v_cvt_f64_f32_e32 v[2:3], v2
	s_delay_alu instid0(VALU_DEP_2) | instskip(NEXT) | instid1(VALU_DEP_2)
	v_mul_f64_e32 v[0:1], s[4:5], v[0:1]
	v_mul_f64_e32 v[2:3], s[4:5], v[2:3]
	s_delay_alu instid0(VALU_DEP_2) | instskip(NEXT) | instid1(VALU_DEP_2)
	v_cvt_f32_f64_e32 v0, v[0:1]
	v_cvt_f32_f64_e32 v1, v[2:3]
	global_store_b64 v[4:5], v[0:1], off
	global_load_b64 v[6:7], v62, s[8:9] offset:616
	ds_load_2addr_b64 v[0:3], v67 offset0:77 offset1:84
	v_add_co_u32 v4, vcc_lo, v4, s2
	s_wait_alu 0xfffd
	v_add_co_ci_u32_e32 v5, vcc_lo, s3, v5, vcc_lo
	s_wait_loadcnt_dscnt 0x0
	v_mul_f32_e32 v10, v1, v7
	v_mul_f32_e32 v7, v0, v7
	s_delay_alu instid0(VALU_DEP_2) | instskip(NEXT) | instid1(VALU_DEP_2)
	v_fmac_f32_e32 v10, v0, v6
	v_fma_f32 v6, v6, v1, -v7
	s_delay_alu instid0(VALU_DEP_2) | instskip(NEXT) | instid1(VALU_DEP_2)
	v_cvt_f64_f32_e32 v[0:1], v10
	v_cvt_f64_f32_e32 v[6:7], v6
	s_delay_alu instid0(VALU_DEP_2) | instskip(NEXT) | instid1(VALU_DEP_2)
	v_mul_f64_e32 v[0:1], s[4:5], v[0:1]
	v_mul_f64_e32 v[6:7], s[4:5], v[6:7]
	s_delay_alu instid0(VALU_DEP_2) | instskip(NEXT) | instid1(VALU_DEP_2)
	v_cvt_f32_f64_e32 v0, v[0:1]
	v_cvt_f32_f64_e32 v1, v[6:7]
	global_store_b64 v[4:5], v[0:1], off
	global_load_b64 v[0:1], v62, s[8:9] offset:672
	v_add_co_u32 v4, vcc_lo, v4, s2
	s_wait_alu 0xfffd
	v_add_co_ci_u32_e32 v5, vcc_lo, s3, v5, vcc_lo
	s_wait_loadcnt 0x0
	v_mul_f32_e32 v6, v3, v1
	v_mul_f32_e32 v1, v2, v1
	s_delay_alu instid0(VALU_DEP_2) | instskip(NEXT) | instid1(VALU_DEP_2)
	v_fmac_f32_e32 v6, v2, v0
	v_fma_f32 v2, v0, v3, -v1
	s_delay_alu instid0(VALU_DEP_2) | instskip(NEXT) | instid1(VALU_DEP_2)
	v_cvt_f64_f32_e32 v[0:1], v6
	v_cvt_f64_f32_e32 v[2:3], v2
	s_delay_alu instid0(VALU_DEP_2) | instskip(NEXT) | instid1(VALU_DEP_2)
	v_mul_f64_e32 v[0:1], s[4:5], v[0:1]
	v_mul_f64_e32 v[2:3], s[4:5], v[2:3]
	s_delay_alu instid0(VALU_DEP_2) | instskip(NEXT) | instid1(VALU_DEP_2)
	v_cvt_f32_f64_e32 v0, v[0:1]
	v_cvt_f32_f64_e32 v1, v[2:3]
	global_store_b64 v[4:5], v[0:1], off
	global_load_b64 v[6:7], v62, s[8:9] offset:728
	ds_load_2addr_b64 v[0:3], v67 offset0:91 offset1:98
	v_add_co_u32 v4, vcc_lo, v4, s2
	s_wait_alu 0xfffd
	v_add_co_ci_u32_e32 v5, vcc_lo, s3, v5, vcc_lo
	s_wait_loadcnt_dscnt 0x0
	v_mul_f32_e32 v10, v1, v7
	v_mul_f32_e32 v7, v0, v7
	s_delay_alu instid0(VALU_DEP_2) | instskip(NEXT) | instid1(VALU_DEP_2)
	v_fmac_f32_e32 v10, v0, v6
	v_fma_f32 v6, v6, v1, -v7
	s_delay_alu instid0(VALU_DEP_2) | instskip(NEXT) | instid1(VALU_DEP_2)
	v_cvt_f64_f32_e32 v[0:1], v10
	v_cvt_f64_f32_e32 v[6:7], v6
	s_delay_alu instid0(VALU_DEP_2) | instskip(NEXT) | instid1(VALU_DEP_2)
	v_mul_f64_e32 v[0:1], s[4:5], v[0:1]
	v_mul_f64_e32 v[6:7], s[4:5], v[6:7]
	s_delay_alu instid0(VALU_DEP_2) | instskip(NEXT) | instid1(VALU_DEP_2)
	v_cvt_f32_f64_e32 v0, v[0:1]
	v_cvt_f32_f64_e32 v1, v[6:7]
	;; [unrolled: 41-line block ×3, first 2 shown]
	global_store_b64 v[4:5], v[0:1], off
	global_load_b64 v[0:1], v62, s[8:9] offset:896
	s_wait_loadcnt 0x0
	v_mul_f32_e32 v4, v3, v1
	v_mul_f32_e32 v1, v2, v1
	s_delay_alu instid0(VALU_DEP_2) | instskip(NEXT) | instid1(VALU_DEP_2)
	v_fmac_f32_e32 v4, v2, v0
	v_fma_f32 v2, v0, v3, -v1
	s_delay_alu instid0(VALU_DEP_2) | instskip(NEXT) | instid1(VALU_DEP_2)
	v_cvt_f64_f32_e32 v[0:1], v4
	v_cvt_f64_f32_e32 v[2:3], v2
	v_mad_co_u64_u32 v[4:5], null, s0, v61, 0
	s_delay_alu instid0(VALU_DEP_3) | instskip(NEXT) | instid1(VALU_DEP_3)
	v_mul_f64_e32 v[0:1], s[4:5], v[0:1]
	v_mul_f64_e32 v[2:3], s[4:5], v[2:3]
	s_delay_alu instid0(VALU_DEP_2) | instskip(NEXT) | instid1(VALU_DEP_2)
	v_cvt_f32_f64_e32 v0, v[0:1]
	v_cvt_f32_f64_e32 v1, v[2:3]
	v_mov_b32_e32 v2, v5
	s_delay_alu instid0(VALU_DEP_1) | instskip(NEXT) | instid1(VALU_DEP_1)
	v_mad_co_u64_u32 v[2:3], null, s1, v61, v[2:3]
	v_mov_b32_e32 v5, v2
	s_delay_alu instid0(VALU_DEP_1) | instskip(NEXT) | instid1(VALU_DEP_1)
	v_lshlrev_b64_e32 v[2:3], 3, v[4:5]
	v_add_co_u32 v2, vcc_lo, v8, v2
	s_wait_alu 0xfffd
	s_delay_alu instid0(VALU_DEP_2)
	v_add_co_ci_u32_e32 v3, vcc_lo, v9, v3, vcc_lo
	global_store_b64 v[2:3], v[0:1], off
.LBB0_15:
	s_nop 0
	s_sendmsg sendmsg(MSG_DEALLOC_VGPRS)
	s_endpgm
	.section	.rodata,"a",@progbits
	.p2align	6, 0x0
	.amdhsa_kernel bluestein_single_back_len119_dim1_sp_op_CI_CI
		.amdhsa_group_segment_fixed_size 14280
		.amdhsa_private_segment_fixed_size 0
		.amdhsa_kernarg_size 104
		.amdhsa_user_sgpr_count 2
		.amdhsa_user_sgpr_dispatch_ptr 0
		.amdhsa_user_sgpr_queue_ptr 0
		.amdhsa_user_sgpr_kernarg_segment_ptr 1
		.amdhsa_user_sgpr_dispatch_id 0
		.amdhsa_user_sgpr_private_segment_size 0
		.amdhsa_wavefront_size32 1
		.amdhsa_uses_dynamic_stack 0
		.amdhsa_enable_private_segment 0
		.amdhsa_system_sgpr_workgroup_id_x 1
		.amdhsa_system_sgpr_workgroup_id_y 0
		.amdhsa_system_sgpr_workgroup_id_z 0
		.amdhsa_system_sgpr_workgroup_info 0
		.amdhsa_system_vgpr_workitem_id 0
		.amdhsa_next_free_vgpr 216
		.amdhsa_next_free_sgpr 14
		.amdhsa_reserve_vcc 1
		.amdhsa_float_round_mode_32 0
		.amdhsa_float_round_mode_16_64 0
		.amdhsa_float_denorm_mode_32 3
		.amdhsa_float_denorm_mode_16_64 3
		.amdhsa_fp16_overflow 0
		.amdhsa_workgroup_processor_mode 1
		.amdhsa_memory_ordered 1
		.amdhsa_forward_progress 0
		.amdhsa_round_robin_scheduling 0
		.amdhsa_exception_fp_ieee_invalid_op 0
		.amdhsa_exception_fp_denorm_src 0
		.amdhsa_exception_fp_ieee_div_zero 0
		.amdhsa_exception_fp_ieee_overflow 0
		.amdhsa_exception_fp_ieee_underflow 0
		.amdhsa_exception_fp_ieee_inexact 0
		.amdhsa_exception_int_div_zero 0
	.end_amdhsa_kernel
	.text
.Lfunc_end0:
	.size	bluestein_single_back_len119_dim1_sp_op_CI_CI, .Lfunc_end0-bluestein_single_back_len119_dim1_sp_op_CI_CI
                                        ; -- End function
	.section	.AMDGPU.csdata,"",@progbits
; Kernel info:
; codeLenInByte = 16932
; NumSgprs: 16
; NumVgprs: 216
; ScratchSize: 0
; MemoryBound: 0
; FloatMode: 240
; IeeeMode: 1
; LDSByteSize: 14280 bytes/workgroup (compile time only)
; SGPRBlocks: 1
; VGPRBlocks: 26
; NumSGPRsForWavesPerEU: 16
; NumVGPRsForWavesPerEU: 216
; Occupancy: 7
; WaveLimiterHint : 1
; COMPUTE_PGM_RSRC2:SCRATCH_EN: 0
; COMPUTE_PGM_RSRC2:USER_SGPR: 2
; COMPUTE_PGM_RSRC2:TRAP_HANDLER: 0
; COMPUTE_PGM_RSRC2:TGID_X_EN: 1
; COMPUTE_PGM_RSRC2:TGID_Y_EN: 0
; COMPUTE_PGM_RSRC2:TGID_Z_EN: 0
; COMPUTE_PGM_RSRC2:TIDIG_COMP_CNT: 0
	.text
	.p2alignl 7, 3214868480
	.fill 96, 4, 3214868480
	.type	__hip_cuid_1224f546877f62f4,@object ; @__hip_cuid_1224f546877f62f4
	.section	.bss,"aw",@nobits
	.globl	__hip_cuid_1224f546877f62f4
__hip_cuid_1224f546877f62f4:
	.byte	0                               ; 0x0
	.size	__hip_cuid_1224f546877f62f4, 1

	.ident	"AMD clang version 19.0.0git (https://github.com/RadeonOpenCompute/llvm-project roc-6.4.0 25133 c7fe45cf4b819c5991fe208aaa96edf142730f1d)"
	.section	".note.GNU-stack","",@progbits
	.addrsig
	.addrsig_sym __hip_cuid_1224f546877f62f4
	.amdgpu_metadata
---
amdhsa.kernels:
  - .args:
      - .actual_access:  read_only
        .address_space:  global
        .offset:         0
        .size:           8
        .value_kind:     global_buffer
      - .actual_access:  read_only
        .address_space:  global
        .offset:         8
        .size:           8
        .value_kind:     global_buffer
      - .actual_access:  read_only
        .address_space:  global
        .offset:         16
        .size:           8
        .value_kind:     global_buffer
      - .actual_access:  read_only
        .address_space:  global
        .offset:         24
        .size:           8
        .value_kind:     global_buffer
      - .actual_access:  read_only
        .address_space:  global
        .offset:         32
        .size:           8
        .value_kind:     global_buffer
      - .offset:         40
        .size:           8
        .value_kind:     by_value
      - .address_space:  global
        .offset:         48
        .size:           8
        .value_kind:     global_buffer
      - .address_space:  global
        .offset:         56
        .size:           8
        .value_kind:     global_buffer
      - .address_space:  global
        .offset:         64
        .size:           8
        .value_kind:     global_buffer
      - .address_space:  global
        .offset:         72
        .size:           8
        .value_kind:     global_buffer
      - .offset:         80
        .size:           4
        .value_kind:     by_value
      - .address_space:  global
        .offset:         88
        .size:           8
        .value_kind:     global_buffer
      - .address_space:  global
        .offset:         96
        .size:           8
        .value_kind:     global_buffer
    .group_segment_fixed_size: 14280
    .kernarg_segment_align: 8
    .kernarg_segment_size: 104
    .language:       OpenCL C
    .language_version:
      - 2
      - 0
    .max_flat_workgroup_size: 255
    .name:           bluestein_single_back_len119_dim1_sp_op_CI_CI
    .private_segment_fixed_size: 0
    .sgpr_count:     16
    .sgpr_spill_count: 0
    .symbol:         bluestein_single_back_len119_dim1_sp_op_CI_CI.kd
    .uniform_work_group_size: 1
    .uses_dynamic_stack: false
    .vgpr_count:     216
    .vgpr_spill_count: 0
    .wavefront_size: 32
    .workgroup_processor_mode: 1
amdhsa.target:   amdgcn-amd-amdhsa--gfx1201
amdhsa.version:
  - 1
  - 2
...

	.end_amdgpu_metadata
